;; amdgpu-corpus repo=ROCm/rocFFT kind=compiled arch=gfx1030 opt=O3
	.text
	.amdgcn_target "amdgcn-amd-amdhsa--gfx1030"
	.amdhsa_code_object_version 6
	.protected	fft_rtc_back_len1176_factors_2_2_2_3_7_7_wgs_56_tpt_56_halfLds_sp_ip_CI_sbrr_dirReg ; -- Begin function fft_rtc_back_len1176_factors_2_2_2_3_7_7_wgs_56_tpt_56_halfLds_sp_ip_CI_sbrr_dirReg
	.globl	fft_rtc_back_len1176_factors_2_2_2_3_7_7_wgs_56_tpt_56_halfLds_sp_ip_CI_sbrr_dirReg
	.p2align	8
	.type	fft_rtc_back_len1176_factors_2_2_2_3_7_7_wgs_56_tpt_56_halfLds_sp_ip_CI_sbrr_dirReg,@function
fft_rtc_back_len1176_factors_2_2_2_3_7_7_wgs_56_tpt_56_halfLds_sp_ip_CI_sbrr_dirReg: ; @fft_rtc_back_len1176_factors_2_2_2_3_7_7_wgs_56_tpt_56_halfLds_sp_ip_CI_sbrr_dirReg
; %bb.0:
	s_clause 0x2
	s_load_dwordx2 s[14:15], s[4:5], 0x18
	s_load_dwordx4 s[8:11], s[4:5], 0x0
	s_load_dwordx2 s[12:13], s[4:5], 0x50
	v_mul_u32_u24_e32 v1, 0x493, v0
	v_mov_b32_e32 v3, 0
	v_add_nc_u32_sdwa v5, s6, v1 dst_sel:DWORD dst_unused:UNUSED_PAD src0_sel:DWORD src1_sel:WORD_1
	v_mov_b32_e32 v1, 0
	v_mov_b32_e32 v6, v3
	v_mov_b32_e32 v2, 0
	s_waitcnt lgkmcnt(0)
	s_load_dwordx2 s[2:3], s[14:15], 0x0
	v_cmp_lt_u64_e64 s0, s[10:11], 2
	s_and_b32 vcc_lo, exec_lo, s0
	s_cbranch_vccnz .LBB0_8
; %bb.1:
	s_load_dwordx2 s[0:1], s[4:5], 0x10
	v_mov_b32_e32 v1, 0
	s_add_u32 s6, s14, 8
	v_mov_b32_e32 v2, 0
	s_addc_u32 s7, s15, 0
	s_mov_b64 s[18:19], 1
	s_waitcnt lgkmcnt(0)
	s_add_u32 s16, s0, 8
	s_addc_u32 s17, s1, 0
.LBB0_2:                                ; =>This Inner Loop Header: Depth=1
	s_load_dwordx2 s[20:21], s[16:17], 0x0
                                        ; implicit-def: $vgpr7_vgpr8
	s_mov_b32 s0, exec_lo
	s_waitcnt lgkmcnt(0)
	v_or_b32_e32 v4, s21, v6
	v_cmpx_ne_u64_e32 0, v[3:4]
	s_xor_b32 s1, exec_lo, s0
	s_cbranch_execz .LBB0_4
; %bb.3:                                ;   in Loop: Header=BB0_2 Depth=1
	v_cvt_f32_u32_e32 v4, s20
	v_cvt_f32_u32_e32 v7, s21
	s_sub_u32 s0, 0, s20
	s_subb_u32 s22, 0, s21
	v_fmac_f32_e32 v4, 0x4f800000, v7
	v_rcp_f32_e32 v4, v4
	v_mul_f32_e32 v4, 0x5f7ffffc, v4
	v_mul_f32_e32 v7, 0x2f800000, v4
	v_trunc_f32_e32 v7, v7
	v_fmac_f32_e32 v4, 0xcf800000, v7
	v_cvt_u32_f32_e32 v7, v7
	v_cvt_u32_f32_e32 v4, v4
	v_mul_lo_u32 v8, s0, v7
	v_mul_hi_u32 v9, s0, v4
	v_mul_lo_u32 v10, s22, v4
	v_add_nc_u32_e32 v8, v9, v8
	v_mul_lo_u32 v9, s0, v4
	v_add_nc_u32_e32 v8, v8, v10
	v_mul_hi_u32 v10, v4, v9
	v_mul_lo_u32 v11, v4, v8
	v_mul_hi_u32 v12, v4, v8
	v_mul_hi_u32 v13, v7, v9
	v_mul_lo_u32 v9, v7, v9
	v_mul_hi_u32 v14, v7, v8
	v_mul_lo_u32 v8, v7, v8
	v_add_co_u32 v10, vcc_lo, v10, v11
	v_add_co_ci_u32_e32 v11, vcc_lo, 0, v12, vcc_lo
	v_add_co_u32 v9, vcc_lo, v10, v9
	v_add_co_ci_u32_e32 v9, vcc_lo, v11, v13, vcc_lo
	v_add_co_ci_u32_e32 v10, vcc_lo, 0, v14, vcc_lo
	v_add_co_u32 v8, vcc_lo, v9, v8
	v_add_co_ci_u32_e32 v9, vcc_lo, 0, v10, vcc_lo
	v_add_co_u32 v4, vcc_lo, v4, v8
	v_add_co_ci_u32_e32 v7, vcc_lo, v7, v9, vcc_lo
	v_mul_hi_u32 v8, s0, v4
	v_mul_lo_u32 v10, s22, v4
	v_mul_lo_u32 v9, s0, v7
	v_add_nc_u32_e32 v8, v8, v9
	v_mul_lo_u32 v9, s0, v4
	v_add_nc_u32_e32 v8, v8, v10
	v_mul_hi_u32 v10, v4, v9
	v_mul_lo_u32 v11, v4, v8
	v_mul_hi_u32 v12, v4, v8
	v_mul_hi_u32 v13, v7, v9
	v_mul_lo_u32 v9, v7, v9
	v_mul_hi_u32 v14, v7, v8
	v_mul_lo_u32 v8, v7, v8
	v_add_co_u32 v10, vcc_lo, v10, v11
	v_add_co_ci_u32_e32 v11, vcc_lo, 0, v12, vcc_lo
	v_add_co_u32 v9, vcc_lo, v10, v9
	v_add_co_ci_u32_e32 v9, vcc_lo, v11, v13, vcc_lo
	v_add_co_ci_u32_e32 v10, vcc_lo, 0, v14, vcc_lo
	v_add_co_u32 v8, vcc_lo, v9, v8
	v_add_co_ci_u32_e32 v9, vcc_lo, 0, v10, vcc_lo
	v_add_co_u32 v4, vcc_lo, v4, v8
	v_add_co_ci_u32_e32 v11, vcc_lo, v7, v9, vcc_lo
	v_mul_hi_u32 v13, v5, v4
	v_mad_u64_u32 v[9:10], null, v6, v4, 0
	v_mad_u64_u32 v[7:8], null, v5, v11, 0
	;; [unrolled: 1-line block ×3, first 2 shown]
	v_add_co_u32 v4, vcc_lo, v13, v7
	v_add_co_ci_u32_e32 v7, vcc_lo, 0, v8, vcc_lo
	v_add_co_u32 v4, vcc_lo, v4, v9
	v_add_co_ci_u32_e32 v4, vcc_lo, v7, v10, vcc_lo
	v_add_co_ci_u32_e32 v7, vcc_lo, 0, v12, vcc_lo
	v_add_co_u32 v4, vcc_lo, v4, v11
	v_add_co_ci_u32_e32 v9, vcc_lo, 0, v7, vcc_lo
	v_mul_lo_u32 v10, s21, v4
	v_mad_u64_u32 v[7:8], null, s20, v4, 0
	v_mul_lo_u32 v11, s20, v9
	v_sub_co_u32 v7, vcc_lo, v5, v7
	v_add3_u32 v8, v8, v11, v10
	v_sub_nc_u32_e32 v10, v6, v8
	v_subrev_co_ci_u32_e64 v10, s0, s21, v10, vcc_lo
	v_add_co_u32 v11, s0, v4, 2
	v_add_co_ci_u32_e64 v12, s0, 0, v9, s0
	v_sub_co_u32 v13, s0, v7, s20
	v_sub_co_ci_u32_e32 v8, vcc_lo, v6, v8, vcc_lo
	v_subrev_co_ci_u32_e64 v10, s0, 0, v10, s0
	v_cmp_le_u32_e32 vcc_lo, s20, v13
	v_cmp_eq_u32_e64 s0, s21, v8
	v_cndmask_b32_e64 v13, 0, -1, vcc_lo
	v_cmp_le_u32_e32 vcc_lo, s21, v10
	v_cndmask_b32_e64 v14, 0, -1, vcc_lo
	v_cmp_le_u32_e32 vcc_lo, s20, v7
	;; [unrolled: 2-line block ×3, first 2 shown]
	v_cndmask_b32_e64 v15, 0, -1, vcc_lo
	v_cmp_eq_u32_e32 vcc_lo, s21, v10
	v_cndmask_b32_e64 v7, v15, v7, s0
	v_cndmask_b32_e32 v10, v14, v13, vcc_lo
	v_add_co_u32 v13, vcc_lo, v4, 1
	v_add_co_ci_u32_e32 v14, vcc_lo, 0, v9, vcc_lo
	v_cmp_ne_u32_e32 vcc_lo, 0, v10
	v_cndmask_b32_e32 v8, v14, v12, vcc_lo
	v_cndmask_b32_e32 v10, v13, v11, vcc_lo
	v_cmp_ne_u32_e32 vcc_lo, 0, v7
	v_cndmask_b32_e32 v8, v9, v8, vcc_lo
	v_cndmask_b32_e32 v7, v4, v10, vcc_lo
.LBB0_4:                                ;   in Loop: Header=BB0_2 Depth=1
	s_andn2_saveexec_b32 s0, s1
	s_cbranch_execz .LBB0_6
; %bb.5:                                ;   in Loop: Header=BB0_2 Depth=1
	v_cvt_f32_u32_e32 v4, s20
	s_sub_i32 s1, 0, s20
	v_rcp_iflag_f32_e32 v4, v4
	v_mul_f32_e32 v4, 0x4f7ffffe, v4
	v_cvt_u32_f32_e32 v4, v4
	v_mul_lo_u32 v7, s1, v4
	v_mul_hi_u32 v7, v4, v7
	v_add_nc_u32_e32 v4, v4, v7
	v_mul_hi_u32 v4, v5, v4
	v_mul_lo_u32 v7, v4, s20
	v_add_nc_u32_e32 v8, 1, v4
	v_sub_nc_u32_e32 v7, v5, v7
	v_subrev_nc_u32_e32 v9, s20, v7
	v_cmp_le_u32_e32 vcc_lo, s20, v7
	v_cndmask_b32_e32 v7, v7, v9, vcc_lo
	v_cndmask_b32_e32 v4, v4, v8, vcc_lo
	v_cmp_le_u32_e32 vcc_lo, s20, v7
	v_add_nc_u32_e32 v8, 1, v4
	v_cndmask_b32_e32 v7, v4, v8, vcc_lo
	v_mov_b32_e32 v8, v3
.LBB0_6:                                ;   in Loop: Header=BB0_2 Depth=1
	s_or_b32 exec_lo, exec_lo, s0
	s_load_dwordx2 s[0:1], s[6:7], 0x0
	v_mul_lo_u32 v4, v8, s20
	v_mul_lo_u32 v11, v7, s21
	v_mad_u64_u32 v[9:10], null, v7, s20, 0
	s_add_u32 s18, s18, 1
	s_addc_u32 s19, s19, 0
	s_add_u32 s6, s6, 8
	s_addc_u32 s7, s7, 0
	;; [unrolled: 2-line block ×3, first 2 shown]
	v_add3_u32 v4, v10, v11, v4
	v_sub_co_u32 v5, vcc_lo, v5, v9
	v_sub_co_ci_u32_e32 v4, vcc_lo, v6, v4, vcc_lo
	s_waitcnt lgkmcnt(0)
	v_mul_lo_u32 v6, s1, v5
	v_mul_lo_u32 v4, s0, v4
	v_mad_u64_u32 v[1:2], null, s0, v5, v[1:2]
	v_cmp_ge_u64_e64 s0, s[18:19], s[10:11]
	s_and_b32 vcc_lo, exec_lo, s0
	v_add3_u32 v2, v6, v2, v4
	s_cbranch_vccnz .LBB0_9
; %bb.7:                                ;   in Loop: Header=BB0_2 Depth=1
	v_mov_b32_e32 v5, v7
	v_mov_b32_e32 v6, v8
	s_branch .LBB0_2
.LBB0_8:
	v_mov_b32_e32 v8, v6
	v_mov_b32_e32 v7, v5
.LBB0_9:
	s_lshl_b64 s[0:1], s[10:11], 3
	v_mul_hi_u32 v3, 0x4924925, v0
	s_add_u32 s0, s14, s0
	s_addc_u32 s1, s15, s1
	s_load_dwordx2 s[4:5], s[4:5], 0x20
	s_load_dwordx2 s[0:1], s[0:1], 0x0
                                        ; implicit-def: $vgpr63
                                        ; implicit-def: $vgpr64
                                        ; implicit-def: $vgpr68
                                        ; implicit-def: $vgpr67
                                        ; implicit-def: $vgpr66
                                        ; implicit-def: $vgpr71
                                        ; implicit-def: $vgpr70
	v_mul_u32_u24_e32 v3, 56, v3
	v_sub_nc_u32_e32 v56, v0, v3
	v_add_nc_u32_e32 v58, 56, v56
	v_add_nc_u32_e32 v55, 0x70, v56
	;; [unrolled: 1-line block ×5, first 2 shown]
	s_waitcnt lgkmcnt(0)
	v_cmp_gt_u64_e32 vcc_lo, s[4:5], v[7:8]
	v_mul_lo_u32 v3, s0, v8
	v_mul_lo_u32 v4, s1, v7
	v_mad_u64_u32 v[0:1], null, s0, v7, v[1:2]
	v_cmp_le_u64_e64 s0, s[4:5], v[7:8]
	v_add_nc_u32_e32 v61, 0x150, v56
	v_add_nc_u32_e32 v57, 0x188, v56
	v_or_b32_e32 v69, 0x1c0, v56
	v_add_nc_u32_e32 v60, 0x1f8, v56
                                        ; implicit-def: $sgpr4
	v_add3_u32 v1, v4, v1, v3
	s_and_saveexec_b32 s1, s0
	s_xor_b32 s0, exec_lo, s1
; %bb.10:
	v_add_nc_u32_e32 v63, 56, v56
	v_add_nc_u32_e32 v64, 0x70, v56
	;; [unrolled: 1-line block ×7, first 2 shown]
	v_or_b32_e32 v69, 0x1c0, v56
	v_add_nc_u32_e32 v70, 0x1f8, v56
	s_mov_b32 s4, 0
; %bb.11:
	s_or_saveexec_b32 s1, s0
	v_lshlrev_b64 v[4:5], 3, v[0:1]
	v_mov_b32_e32 v13, s4
	v_mov_b32_e32 v12, s4
                                        ; implicit-def: $vgpr3
                                        ; implicit-def: $vgpr7
                                        ; implicit-def: $vgpr1
                                        ; implicit-def: $vgpr15
                                        ; implicit-def: $vgpr17
                                        ; implicit-def: $vgpr21
                                        ; implicit-def: $vgpr19
                                        ; implicit-def: $vgpr25
                                        ; implicit-def: $vgpr23
                                        ; implicit-def: $vgpr27
                                        ; implicit-def: $vgpr29
                                        ; implicit-def: $vgpr31
                                        ; implicit-def: $vgpr40
                                        ; implicit-def: $vgpr35
                                        ; implicit-def: $vgpr37
                                        ; implicit-def: $vgpr54
                                        ; implicit-def: $vgpr49
                                        ; implicit-def: $vgpr45
                                        ; implicit-def: $vgpr47
                                        ; implicit-def: $vgpr33
                                        ; implicit-def: $vgpr9
	s_xor_b32 exec_lo, exec_lo, s1
	s_cbranch_execz .LBB0_15
; %bb.12:
	v_add_nc_u32_e32 v10, 0x24c, v56
	v_mad_u64_u32 v[0:1], null, s2, v56, 0
	v_add_nc_u32_e32 v15, 0x284, v56
	v_mad_u64_u32 v[6:7], null, s2, v58, 0
	v_mad_u64_u32 v[2:3], null, s2, v10, 0
	;; [unrolled: 1-line block ×3, first 2 shown]
	v_add_nc_u32_e32 v22, 0x2bc, v56
	v_mad_u64_u32 v[20:21], null, s2, v62, 0
	v_add_nc_u32_e32 v25, 0x2f4, v56
	v_mad_u64_u32 v[8:9], null, s3, v56, v[1:2]
	v_mov_b32_e32 v1, v3
	v_mov_b32_e32 v3, v7
	;; [unrolled: 1-line block ×3, first 2 shown]
	v_mad_u64_u32 v[16:17], null, s2, v22, 0
	v_mad_u64_u32 v[9:10], null, s3, v10, v[1:2]
	v_mov_b32_e32 v1, v8
	v_mad_u64_u32 v[13:14], null, s3, v58, v[3:4]
	v_add_co_u32 v10, s0, s12, v4
	v_lshlrev_b64 v[0:1], 3, v[0:1]
	v_mov_b32_e32 v3, v9
	v_mad_u64_u32 v[8:9], null, s3, v15, v[7:8]
	v_mad_u64_u32 v[14:15], null, s2, v55, 0
	v_add_co_ci_u32_e64 v11, s0, s13, v5, s0
	v_lshlrev_b64 v[2:3], 3, v[2:3]
	v_add_co_u32 v0, s0, v10, v0
	v_add_co_ci_u32_e64 v1, s0, v11, v1, s0
	v_mov_b32_e32 v7, v13
	v_mov_b32_e32 v13, v8
	v_add_co_u32 v8, s0, v10, v2
	v_mov_b32_e32 v2, v15
	v_add_co_ci_u32_e64 v9, s0, v11, v3, s0
	v_lshlrev_b64 v[6:7], 3, v[6:7]
	v_lshlrev_b64 v[12:13], 3, v[12:13]
	v_mad_u64_u32 v[2:3], null, s3, v55, v[2:3]
	v_mov_b32_e32 v3, v17
	v_add_nc_u32_e32 v28, 0x32c, v56
	v_add_co_u32 v18, s0, v10, v6
	v_add_co_ci_u32_e64 v19, s0, v11, v7, s0
	v_mov_b32_e32 v15, v2
	v_add_co_u32 v12, s0, v10, v12
	v_add_co_ci_u32_e64 v13, s0, v11, v13, s0
	v_mad_u64_u32 v[22:23], null, s3, v22, v[3:4]
	s_clause 0x3
	global_load_dwordx2 v[2:3], v[0:1], off
	global_load_dwordx2 v[6:7], v[8:9], off
	;; [unrolled: 1-line block ×4, first 2 shown]
	v_lshlrev_b64 v[13:14], 3, v[14:15]
	v_mov_b32_e32 v12, v21
	v_mad_u64_u32 v[18:19], null, s2, v25, 0
	v_mad_u64_u32 v[26:27], null, s2, v28, 0
	;; [unrolled: 1-line block ×3, first 2 shown]
	v_mov_b32_e32 v17, v22
	v_add_co_u32 v12, s0, v10, v13
	v_add_co_ci_u32_e64 v13, s0, v11, v14, s0
	v_lshlrev_b64 v[14:15], 3, v[16:17]
	v_mov_b32_e32 v21, v23
	v_mad_u64_u32 v[22:23], null, s2, v59, 0
	v_mov_b32_e32 v16, v19
	v_add_nc_u32_e32 v32, 0x364, v56
	v_add_co_u32 v24, s0, v10, v14
	v_lshlrev_b64 v[20:21], 3, v[20:21]
	v_mad_u64_u32 v[16:17], null, s3, v25, v[16:17]
	v_mov_b32_e32 v14, v23
	v_add_co_ci_u32_e64 v25, s0, v11, v15, s0
	v_add_nc_u32_e32 v40, 0x39c, v56
	v_mad_u64_u32 v[36:37], null, s2, v57, 0
	v_mad_u64_u32 v[14:15], null, s3, v59, v[14:15]
	v_mov_b32_e32 v19, v16
	v_add_co_u32 v16, s0, v10, v20
	v_add_co_ci_u32_e64 v17, s0, v11, v21, s0
	v_mad_u64_u32 v[20:21], null, s2, v65, 0
	v_mov_b32_e32 v15, v27
	v_mov_b32_e32 v23, v14
	v_lshlrev_b64 v[18:19], 3, v[18:19]
	v_add_nc_u32_e32 v44, 0x3d4, v56
	v_add_nc_u32_e32 v54, 0x444, v56
	v_mad_u64_u32 v[14:15], null, s3, v28, v[15:16]
	v_mov_b32_e32 v15, v21
	v_lshlrev_b64 v[21:22], 3, v[22:23]
	v_mad_u64_u32 v[28:29], null, s2, v32, 0
	v_add_co_u32 v18, s0, v10, v18
	v_add_co_ci_u32_e64 v19, s0, v11, v19, s0
	v_add_co_u32 v34, s0, v10, v21
	v_mad_u64_u32 v[30:31], null, s3, v65, v[15:16]
	v_mov_b32_e32 v27, v14
	v_add_co_ci_u32_e64 v35, s0, v11, v22, s0
	v_mov_b32_e32 v22, v29
	v_mad_u64_u32 v[52:53], null, s2, v54, 0
	v_lshlrev_b64 v[14:15], 3, v[26:27]
	v_mov_b32_e32 v21, v30
	v_mad_u64_u32 v[22:23], null, s3, v32, v[22:23]
	v_mad_u64_u32 v[26:27], null, s2, v61, 0
	v_add_co_u32 v30, s0, v10, v14
	v_add_co_ci_u32_e64 v31, s0, v11, v15, s0
	v_lshlrev_b64 v[14:15], 3, v[20:21]
	v_mov_b32_e32 v29, v22
	v_mad_u64_u32 v[21:22], null, s2, v40, 0
	v_mov_b32_e32 v20, v27
	s_mov_b32 s4, exec_lo
	v_add_co_u32 v38, s0, v10, v14
	v_add_co_ci_u32_e64 v39, s0, v11, v15, s0
	v_mov_b32_e32 v14, v22
	v_mad_u64_u32 v[32:33], null, s3, v61, v[20:21]
	v_lshlrev_b64 v[22:23], 3, v[28:29]
	v_mad_u64_u32 v[28:29], null, s2, v44, 0
	v_mad_u64_u32 v[14:15], null, s3, v40, v[14:15]
	v_mov_b32_e32 v15, v37
	v_mov_b32_e32 v27, v32
	v_add_co_u32 v40, s0, v10, v22
	v_add_co_ci_u32_e64 v41, s0, v11, v23, s0
	v_mad_u64_u32 v[32:33], null, s3, v57, v[15:16]
	v_mov_b32_e32 v22, v14
	v_lshlrev_b64 v[26:27], 3, v[26:27]
	v_mov_b32_e32 v14, v29
	v_lshlrev_b64 v[20:21], 3, v[21:22]
	v_mov_b32_e32 v37, v32
	v_add_co_u32 v42, s0, v10, v26
	v_mad_u64_u32 v[14:15], null, s3, v44, v[14:15]
	v_mad_u64_u32 v[44:45], null, s2, v69, 0
	v_add_co_ci_u32_e64 v43, s0, v11, v27, s0
	v_add_co_u32 v46, s0, v10, v20
	v_add_nc_u32_e32 v22, 0x40c, v56
	v_add_co_ci_u32_e64 v47, s0, v11, v21, s0
	v_lshlrev_b64 v[20:21], 3, v[36:37]
	v_mov_b32_e32 v29, v14
	v_mov_b32_e32 v14, v45
	v_mad_u64_u32 v[36:37], null, s2, v22, 0
	v_add_co_u32 v48, s0, v10, v20
	v_add_co_ci_u32_e64 v49, s0, v11, v21, s0
	v_lshlrev_b64 v[20:21], 3, v[28:29]
	v_mad_u64_u32 v[14:15], null, s3, v69, v[14:15]
	v_mov_b32_e32 v15, v37
	v_mad_u64_u32 v[28:29], null, s2, v60, 0
	v_add_co_u32 v50, s0, v10, v20
	v_add_co_ci_u32_e64 v51, s0, v11, v21, s0
	v_mov_b32_e32 v45, v14
	v_mad_u64_u32 v[22:23], null, s3, v22, v[15:16]
	s_clause 0x3
	global_load_dwordx2 v[14:15], v[12:13], off
	global_load_dwordx2 v[32:33], v[24:25], off
	global_load_dwordx2 v[16:17], v[16:17], off
	global_load_dwordx2 v[20:21], v[18:19], off
	v_mov_b32_e32 v23, v29
	v_mad_u64_u32 v[12:13], null, s3, v60, v[23:24]
	v_mov_b32_e32 v13, v53
	v_mov_b32_e32 v37, v22
	s_clause 0x3
	global_load_dwordx2 v[18:19], v[34:35], off
	global_load_dwordx2 v[24:25], v[30:31], off
	;; [unrolled: 1-line block ×4, first 2 shown]
	v_lshlrev_b64 v[30:31], 3, v[44:45]
	v_mov_b32_e32 v29, v12
	v_add_co_u32 v12, s0, v10, v30
	v_lshlrev_b64 v[28:29], 3, v[28:29]
	s_waitcnt vmcnt(7)
	v_mad_u64_u32 v[34:35], null, s3, v54, v[13:14]
	v_lshlrev_b64 v[35:36], 3, v[36:37]
	v_add_co_ci_u32_e64 v13, s0, v11, v31, s0
	v_mov_b32_e32 v53, v34
	v_add_co_u32 v37, s0, v10, v35
	v_add_co_ci_u32_e64 v38, s0, v11, v36, s0
	v_lshlrev_b64 v[30:31], 3, v[52:53]
	v_add_co_u32 v52, s0, v10, v28
	v_add_co_ci_u32_e64 v53, s0, v11, v29, s0
	v_add_co_u32 v63, s0, v10, v30
	v_add_co_ci_u32_e64 v64, s0, v11, v31, s0
	s_clause 0x7
	global_load_dwordx2 v[28:29], v[42:43], off
	global_load_dwordx2 v[46:47], v[46:47], off
	;; [unrolled: 1-line block ×8, first 2 shown]
	v_mov_b32_e32 v12, 0
	v_mov_b32_e32 v13, 0
                                        ; implicit-def: $vgpr53
	v_cmpx_gt_u32_e32 28, v56
	s_cbranch_execz .LBB0_14
; %bb.13:
	v_add_nc_u32_e32 v50, 0x47c, v56
	v_add_nc_u32_e32 v43, 0x230, v56
	v_mad_u64_u32 v[41:42], null, s2, v50, 0
	v_mad_u64_u32 v[12:13], null, s2, v43, 0
	v_mov_b32_e32 v38, v42
	v_mad_u64_u32 v[42:43], null, s3, v43, v[13:14]
	s_waitcnt vmcnt(4)
	v_mad_u64_u32 v[50:51], null, s3, v50, v[38:39]
	v_mov_b32_e32 v13, v42
	v_mov_b32_e32 v42, v50
	v_lshlrev_b64 v[12:13], 3, v[12:13]
	v_lshlrev_b64 v[41:42], 3, v[41:42]
	v_add_co_u32 v12, s0, v10, v12
	v_add_co_ci_u32_e64 v13, s0, v11, v13, s0
	v_add_co_u32 v10, s0, v10, v41
	v_add_co_ci_u32_e64 v11, s0, v11, v42, s0
	s_clause 0x1
	global_load_dwordx2 v[12:13], v[12:13], off
	global_load_dwordx2 v[53:54], v[10:11], off
.LBB0_14:
	s_or_b32 exec_lo, exec_lo, s4
	v_mov_b32_e32 v70, v60
	v_mov_b32_e32 v71, v57
	v_mov_b32_e32 v66, v61
	v_mov_b32_e32 v67, v59
	v_mov_b32_e32 v68, v62
	v_mov_b32_e32 v64, v55
	v_mov_b32_e32 v63, v58
.LBB0_15:
	s_or_b32 exec_lo, exec_lo, s1
	v_sub_f32_e32 v11, v2, v6
	v_sub_f32_e32 v42, v0, v8
	v_lshl_add_u32 v72, v56, 3, 0
	v_lshl_add_u32 v73, v63, 3, 0
	s_waitcnt vmcnt(14)
	v_sub_f32_e32 v51, v14, v32
	v_fma_f32 v10, v2, 2.0, -v11
	v_fma_f32 v41, v0, 2.0, -v42
	s_waitcnt vmcnt(12)
	v_sub_f32_e32 v43, v16, v20
	v_lshl_add_u32 v32, v64, 3, 0
	v_fma_f32 v50, v14, 2.0, -v51
	ds_write_b64 v72, v[10:11]
	ds_write_b64 v73, v[41:42]
	s_waitcnt vmcnt(10)
	v_sub_f32_e32 v11, v18, v24
	v_fma_f32 v42, v16, 2.0, -v43
	v_lshl_add_u32 v16, v68, 3, 0
	v_lshl_add_u32 v20, v67, 3, 0
	ds_write_b64 v32, v[50:51]
	v_fma_f32 v10, v18, 2.0, -v11
	s_waitcnt vmcnt(8)
	v_sub_f32_e32 v51, v22, v26
	v_lshl_add_u32 v24, v65, 3, 0
	ds_write_b64 v16, v[42:43]
	ds_write_b64 v20, v[10:11]
	s_waitcnt vmcnt(2)
	v_sub_f32_e32 v42, v34, v44
	v_fma_f32 v50, v22, 2.0, -v51
	v_sub_f32_e32 v52, v28, v46
	v_sub_f32_e32 v39, v30, v39
	s_waitcnt vmcnt(0)
	v_sub_f32_e32 v11, v12, v53
	v_fma_f32 v41, v34, 2.0, -v42
	v_add_nc_u32_e32 v34, 0x230, v56
	v_sub_f32_e32 v44, v36, v48
	ds_write_b64 v24, v[50:51]
	v_fma_f32 v51, v28, 2.0, -v52
	v_lshl_add_u32 v28, v66, 3, 0
	v_fma_f32 v38, v30, 2.0, -v39
	v_lshl_add_u32 v26, v71, 3, 0
	v_lshl_add_u32 v30, v69, 3, 0
	;; [unrolled: 1-line block ×3, first 2 shown]
	v_fma_f32 v10, v12, 2.0, -v11
	v_cmp_gt_u32_e64 s0, 28, v56
	v_lshl_add_u32 v18, v34, 3, 0
	v_fma_f32 v43, v36, 2.0, -v44
	ds_write_b64 v28, v[51:52]
	ds_write_b64 v26, v[38:39]
	ds_write_b64 v30, v[41:42]
	ds_write_b64 v48, v[43:44]
	s_and_saveexec_b32 s1, s0
	s_cbranch_execz .LBB0_17
; %bb.16:
	ds_write_b64 v18, v[10:11]
.LBB0_17:
	s_or_b32 exec_lo, exec_lo, s1
	v_lshl_add_u32 v46, v56, 2, 0
	v_lshlrev_b32_e32 v0, 2, v64
	v_lshlrev_b32_e32 v22, 2, v68
	;; [unrolled: 1-line block ×4, first 2 shown]
	v_add_nc_u32_e32 v2, 0x800, v46
	v_lshlrev_b32_e32 v77, 2, v66
	v_lshlrev_b32_e32 v88, 2, v70
	s_waitcnt lgkmcnt(0)
	s_barrier
	buffer_gl0_inv
	ds_read2_b32 v[41:42], v2 offset0:76 offset1:132
	ds_read2_b32 v[38:39], v2 offset0:188 offset1:244
	v_add_nc_u32_e32 v2, 0xc00, v46
	v_lshlrev_b32_e32 v86, 2, v71
	v_lshlrev_b32_e32 v87, 2, v69
	v_lshl_add_u32 v36, v63, 2, 0
	v_sub_nc_u32_e32 v8, v32, v0
	v_sub_nc_u32_e32 v12, v16, v22
	;; [unrolled: 1-line block ×5, first 2 shown]
	v_add_nc_u32_e32 v81, 0x1000, v46
	v_sub_nc_u32_e32 v82, v48, v88
	ds_read2_b32 v[43:44], v2 offset0:44 offset1:100
	ds_read2_b32 v[50:51], v2 offset0:156 offset1:212
	v_sub_nc_u32_e32 v75, v26, v86
	v_sub_nc_u32_e32 v76, v30, v87
	ds_read_b32 v2, v46
	ds_read_b32 v6, v36
	;; [unrolled: 1-line block ×8, first 2 shown]
	ds_read2_b32 v[52:53], v81 offset0:12 offset1:68
	ds_read_b32 v81, v76
	ds_read_b32 v82, v82
	s_and_saveexec_b32 s1, s0
	s_cbranch_execz .LBB0_19
; %bb.18:
	ds_read_b32 v10, v46 offset:2240
	ds_read_b32 v11, v46 offset:4592
.LBB0_19:
	s_or_b32 exec_lo, exec_lo, s1
	v_sub_nc_u32_e32 v75, 0, v22
	v_sub_f32_e32 v22, v1, v9
	v_sub_f32_e32 v89, v3, v7
	;; [unrolled: 1-line block ×3, first 2 shown]
	v_sub_nc_u32_e32 v85, 0, v77
	v_sub_nc_u32_e32 v77, 0, v87
	v_fma_f32 v21, v1, 2.0, -v22
	v_sub_f32_e32 v1, v13, v54
	v_sub_f32_e32 v87, v15, v33
	;; [unrolled: 1-line block ×3, first 2 shown]
	v_sub_nc_u32_e32 v83, 0, v0
	v_sub_nc_u32_e32 v76, 0, v74
	;; [unrolled: 1-line block ×5, first 2 shown]
	v_fma_f32 v88, v3, 2.0, -v89
	v_sub_f32_e32 v95, v23, v27
	v_sub_f32_e32 v97, v29, v47
	;; [unrolled: 1-line block ×5, first 2 shown]
	v_fma_f32 v0, v13, 2.0, -v1
	v_fma_f32 v86, v15, 2.0, -v87
	;; [unrolled: 1-line block ×9, first 2 shown]
	s_waitcnt lgkmcnt(0)
	s_barrier
	buffer_gl0_inv
	ds_write_b64 v72, v[88:89]
	ds_write_b64 v73, v[21:22]
	;; [unrolled: 1-line block ×10, first 2 shown]
	s_and_saveexec_b32 s1, s0
	s_cbranch_execz .LBB0_21
; %bb.20:
	ds_write_b64 v18, v[0:1]
.LBB0_21:
	s_or_b32 exec_lo, exec_lo, s1
	v_add_nc_u32_e32 v3, 0x800, v46
	v_add_nc_u32_e32 v9, 0xc00, v46
	;; [unrolled: 1-line block ×5, first 2 shown]
	s_waitcnt lgkmcnt(0)
	s_barrier
	buffer_gl0_inv
	ds_read2_b32 v[22:23], v3 offset0:76 offset1:132
	ds_read2_b32 v[18:19], v3 offset0:188 offset1:244
	ds_read2_b32 v[20:21], v9 offset0:44 offset1:100
	v_add_nc_u32_e32 v74, v24, v74
	v_add_nc_u32_e32 v40, v28, v85
	ds_read2_b32 v[16:17], v9 offset0:156 offset1:212
	v_add_nc_u32_e32 v75, v26, v84
	v_add_nc_u32_e32 v77, v30, v77
	;; [unrolled: 1-line block ×4, first 2 shown]
	ds_read_b32 v92, v46
	ds_read_b32 v87, v36
	;; [unrolled: 1-line block ×8, first 2 shown]
	ds_read2_b32 v[24:25], v3 offset0:12 offset1:68
	ds_read_b32 v85, v77
	ds_read_b32 v86, v45
	v_lshlrev_b32_e32 v76, 1, v56
	v_lshlrev_b32_e32 v73, 1, v63
	;; [unrolled: 1-line block ×10, first 2 shown]
	s_and_saveexec_b32 s1, s0
	s_cbranch_execz .LBB0_23
; %bb.22:
	ds_read_b32 v0, v46 offset:2240
	ds_read_b32 v1, v46 offset:4592
.LBB0_23:
	s_or_b32 exec_lo, exec_lo, s1
	v_and_b32_e32 v70, 1, v56
	v_lshlrev_b32_e32 v28, 1, v34
	v_lshlrev_b32_e32 v3, 3, v70
	v_and_or_b32 v29, 0x2fc, v47, v70
	v_and_or_b32 v7, 0xfc, v73, v70
	;; [unrolled: 1-line block ×4, first 2 shown]
	global_load_dwordx2 v[26:27], v3, s[8:9]
	v_and_or_b32 v3, 0x7c, v76, v70
	v_and_or_b32 v15, 0x3fc, v48, v70
	;; [unrolled: 1-line block ×6, first 2 shown]
	v_lshl_add_u32 v97, v3, 2, 0
	v_lshl_add_u32 v102, v29, 2, 0
	;; [unrolled: 1-line block ×10, first 2 shown]
	s_waitcnt vmcnt(0) lgkmcnt(0)
	s_barrier
	buffer_gl0_inv
	v_mul_f32_e32 v3, v22, v27
	v_mul_f32_e32 v29, v21, v27
	;; [unrolled: 1-line block ×11, first 2 shown]
	v_fmac_f32_e32 v3, v41, v26
	v_fmac_f32_e32 v29, v44, v26
	;; [unrolled: 1-line block ×11, first 2 shown]
	v_sub_f32_e32 v3, v2, v3
	v_sub_f32_e32 v96, v78, v29
	;; [unrolled: 1-line block ×11, first 2 shown]
	v_fma_f32 v2, v2, 2.0, -v3
	v_fma_f32 v69, v10, 2.0, -v29
	;; [unrolled: 1-line block ×11, first 2 shown]
	ds_write2_b32 v97, v2, v3 offset1:2
	ds_write2_b32 v98, v6, v7 offset1:2
	;; [unrolled: 1-line block ×10, first 2 shown]
	s_and_saveexec_b32 s1, s0
	s_cbranch_execz .LBB0_25
; %bb.24:
	v_and_or_b32 v2, 0x4fc, v28, v70
	v_lshl_add_u32 v2, v2, 2, 0
	ds_write2_b32 v2, v69, v29 offset1:2
.LBB0_25:
	s_or_b32 exec_lo, exec_lo, s1
	v_add_nc_u32_e32 v2, 0x800, v46
	v_add_nc_u32_e32 v3, 0xc00, v46
	s_waitcnt lgkmcnt(0)
	s_barrier
	buffer_gl0_inv
	ds_read2_b32 v[14:15], v2 offset0:76 offset1:132
	ds_read2_b32 v[8:9], v2 offset0:188 offset1:244
	;; [unrolled: 1-line block ×4, first 2 shown]
	v_add_nc_u32_e32 v10, 0x1000, v46
	ds_read_b32 v71, v46
	ds_read_b32 v78, v36
	;; [unrolled: 1-line block ×8, first 2 shown]
	ds_read2_b32 v[12:13], v10 offset0:12 offset1:68
	ds_read_b32 v95, v77
	ds_read_b32 v96, v45
	s_and_saveexec_b32 s1, s0
	s_cbranch_execz .LBB0_27
; %bb.26:
	ds_read_b32 v69, v46 offset:2240
	ds_read_b32 v29, v46 offset:4592
.LBB0_27:
	s_or_b32 exec_lo, exec_lo, s1
	v_mul_f32_e32 v10, v41, v27
	v_mul_f32_e32 v41, v42, v27
	;; [unrolled: 1-line block ×5, first 2 shown]
	v_fma_f32 v10, v22, v26, -v10
	v_fma_f32 v22, v23, v26, -v41
	v_mul_f32_e32 v23, v43, v27
	v_mul_f32_e32 v41, v44, v27
	;; [unrolled: 1-line block ×3, first 2 shown]
	v_fma_f32 v18, v18, v26, -v38
	v_fma_f32 v19, v19, v26, -v39
	;; [unrolled: 1-line block ×3, first 2 shown]
	v_mul_f32_e32 v23, v51, v27
	v_mul_f32_e32 v38, v52, v27
	;; [unrolled: 1-line block ×3, first 2 shown]
	v_fma_f32 v1, v1, v26, -v11
	v_fma_f32 v21, v21, v26, -v41
	v_fma_f32 v16, v16, v26, -v42
	v_sub_f32_e32 v10, v92, v10
	v_fma_f32 v17, v17, v26, -v23
	v_fma_f32 v23, v24, v26, -v38
	;; [unrolled: 1-line block ×3, first 2 shown]
	v_sub_f32_e32 v25, v0, v1
	v_sub_f32_e32 v22, v87, v22
	v_sub_f32_e32 v18, v88, v18
	v_sub_f32_e32 v19, v89, v19
	v_sub_f32_e32 v20, v90, v20
	v_fma_f32 v11, v92, 2.0, -v10
	v_sub_f32_e32 v21, v91, v21
	v_sub_f32_e32 v16, v83, v16
	;; [unrolled: 1-line block ×5, first 2 shown]
	v_fma_f32 v24, v0, 2.0, -v25
	v_fma_f32 v26, v87, 2.0, -v22
	;; [unrolled: 1-line block ×10, first 2 shown]
	s_waitcnt lgkmcnt(0)
	s_barrier
	buffer_gl0_inv
	ds_write2_b32 v97, v11, v10 offset1:2
	ds_write2_b32 v98, v26, v22 offset1:2
	;; [unrolled: 1-line block ×10, first 2 shown]
	s_and_saveexec_b32 s1, s0
	s_cbranch_execz .LBB0_29
; %bb.28:
	v_and_or_b32 v0, 0x4fc, v28, v70
	v_lshl_add_u32 v0, v0, 2, 0
	ds_write2_b32 v0, v24, v25 offset1:2
.LBB0_29:
	s_or_b32 exec_lo, exec_lo, s1
	v_add_nc_u32_e32 v0, 0x800, v46
	v_add_nc_u32_e32 v1, 0xc00, v46
	s_waitcnt lgkmcnt(0)
	s_barrier
	buffer_gl0_inv
	ds_read2_b32 v[20:21], v0 offset0:76 offset1:132
	ds_read2_b32 v[18:19], v0 offset0:188 offset1:244
	;; [unrolled: 1-line block ×4, first 2 shown]
	v_add_nc_u32_e32 v0, 0x1000, v46
	ds_read_b32 v38, v46
	ds_read_b32 v39, v36
	;; [unrolled: 1-line block ×8, first 2 shown]
	ds_read2_b32 v[22:23], v0 offset0:12 offset1:68
	ds_read_b32 v70, v77
	ds_read_b32 v77, v45
	s_and_saveexec_b32 s1, s0
	s_cbranch_execz .LBB0_31
; %bb.30:
	ds_read_b32 v24, v46 offset:2240
	ds_read_b32 v25, v46 offset:4592
.LBB0_31:
	s_or_b32 exec_lo, exec_lo, s1
	v_and_b32_e32 v26, 3, v56
	v_lshlrev_b32_e32 v0, 3, v26
	v_and_or_b32 v47, 0x2f8, v47, v26
	v_and_or_b32 v48, 0x3f8, v48, v26
	;; [unrolled: 1-line block ×4, first 2 shown]
	global_load_dwordx2 v[0:1], v0, s[8:9] offset:16
	v_and_or_b32 v51, 0xf8, v73, v26
	v_and_or_b32 v52, 0x1f8, v72, v26
	;; [unrolled: 1-line block ×3, first 2 shown]
	v_lshl_add_u32 v76, v47, 2, 0
	v_lshl_add_u32 v72, v48, 2, 0
	;; [unrolled: 1-line block ×3, first 2 shown]
	v_and_or_b32 v86, 0x7f8, v30, v26
	v_lshl_add_u32 v30, v50, 2, 0
	v_and_or_b32 v85, 0x3f8, v31, v26
	v_lshl_add_u32 v31, v51, 2, 0
	;; [unrolled: 2-line block ×3, first 2 shown]
	v_lshl_add_u32 v83, v73, 2, 0
	v_lshl_add_u32 v85, v85, 2, 0
	;; [unrolled: 1-line block ×4, first 2 shown]
	s_waitcnt vmcnt(0) lgkmcnt(0)
	s_barrier
	buffer_gl0_inv
	v_mul_f32_e32 v47, v20, v1
	v_mul_f32_e32 v48, v21, v1
	;; [unrolled: 1-line block ×10, first 2 shown]
	v_fmac_f32_e32 v47, v14, v0
	v_fmac_f32_e32 v48, v15, v0
	;; [unrolled: 1-line block ×10, first 2 shown]
	v_sub_f32_e32 v47, v71, v47
	v_sub_f32_e32 v48, v78, v48
	;; [unrolled: 1-line block ×10, first 2 shown]
	v_fma_f32 v71, v71, 2.0, -v47
	v_fma_f32 v78, v78, 2.0, -v48
	;; [unrolled: 1-line block ×10, first 2 shown]
	ds_write2_b32 v30, v71, v47 offset1:4
	ds_write2_b32 v31, v78, v48 offset1:4
	;; [unrolled: 1-line block ×10, first 2 shown]
	s_and_saveexec_b32 s1, s0
	s_cbranch_execz .LBB0_33
; %bb.32:
	v_mul_f32_e32 v47, v25, v1
	v_and_or_b32 v48, 0x4f8, v28, v26
	v_fmac_f32_e32 v47, v29, v0
	v_lshl_add_u32 v48, v48, 2, 0
	v_sub_f32_e32 v47, v69, v47
	v_fma_f32 v49, v69, 2.0, -v47
	ds_write2_b32 v48, v49, v47 offset1:4
.LBB0_33:
	s_or_b32 exec_lo, exec_lo, s1
	v_mul_f32_e32 v14, v14, v1
	v_mul_f32_e32 v6, v6, v1
	;; [unrolled: 1-line block ×5, first 2 shown]
	v_fma_f32 v14, v20, v0, -v14
	v_fma_f32 v6, v10, v0, -v6
	v_mul_f32_e32 v10, v12, v1
	v_mul_f32_e32 v12, v13, v1
	v_fma_f32 v8, v18, v0, -v8
	v_fma_f32 v15, v21, v0, -v15
	;; [unrolled: 1-line block ×3, first 2 shown]
	v_mul_f32_e32 v7, v7, v1
	v_fma_f32 v10, v22, v0, -v10
	v_fma_f32 v22, v23, v0, -v12
	v_sub_f32_e32 v23, v38, v14
	v_sub_f32_e32 v8, v41, v8
	v_sub_f32_e32 v69, v39, v15
	v_sub_f32_e32 v9, v42, v9
	v_mul_f32_e32 v2, v2, v1
	v_mul_f32_e32 v3, v3, v1
	v_fma_f32 v7, v11, v0, -v7
	v_sub_f32_e32 v71, v43, v6
	v_fma_f32 v78, v38, 2.0, -v23
	v_add_nc_u32_e32 v38, 0xa00, v46
	v_fma_f32 v80, v41, 2.0, -v8
	v_add_nc_u32_e32 v41, 0xc00, v46
	;; [unrolled: 2-line block ×4, first 2 shown]
	v_fma_f32 v2, v16, v0, -v2
	v_fma_f32 v3, v17, v0, -v3
	v_fma_f32 v82, v43, 2.0, -v71
	v_sub_f32_e32 v87, v27, v7
	v_sub_f32_e32 v88, v70, v10
	s_waitcnt lgkmcnt(0)
	s_barrier
	buffer_gl0_inv
	ds_read2st64_b32 v[6:7], v46 offset1:7
	ds_read2_b32 v[10:11], v38 offset0:88 offset1:144
	ds_read2_b32 v[20:21], v41 offset0:72 offset1:128
	;; [unrolled: 1-line block ×5, first 2 shown]
	v_add_nc_u32_e32 v43, 0x1000, v46
	ds_read_b32 v52, v36
	ds_read_b32 v51, v35
	ds_read_b32 v50, v37
	ds_read_b32 v48, v54
	ds_read_b32 v47, v74
	ds_read2_b32 v[16:17], v43 offset0:40 offset1:96
	ds_read_b32 v73, v75
	ds_read_b32 v49, v40
	v_sub_f32_e32 v2, v44, v2
	v_sub_f32_e32 v3, v53, v3
	;; [unrolled: 1-line block ×3, first 2 shown]
	v_fma_f32 v27, v27, 2.0, -v87
	v_fma_f32 v70, v70, 2.0, -v88
	;; [unrolled: 1-line block ×5, first 2 shown]
	s_waitcnt lgkmcnt(0)
	s_barrier
	buffer_gl0_inv
	ds_write2_b32 v30, v78, v23 offset1:4
	ds_write2_b32 v31, v79, v69 offset1:4
	ds_write2_b32 v32, v80, v8 offset1:4
	ds_write2_b32 v33, v81, v9 offset1:4
	ds_write2_b32 v72, v82, v71 offset1:4
	ds_write2_b32 v76, v27, v87 offset1:4
	ds_write2_b32 v83, v44, v2 offset1:4
	ds_write2_b32 v84, v53, v3 offset1:4
	ds_write2_b32 v85, v70, v88 offset1:4
	ds_write2_b32 v86, v77, v22 offset1:4
	s_and_saveexec_b32 s1, s0
	s_cbranch_execz .LBB0_35
; %bb.34:
	v_mul_f32_e32 v1, v29, v1
	v_fma_f32 v0, v25, v0, -v1
	v_and_or_b32 v1, 0x4f8, v28, v26
	v_sub_f32_e32 v0, v24, v0
	v_lshl_add_u32 v1, v1, 2, 0
	v_fma_f32 v2, v24, 2.0, -v0
	ds_write2_b32 v1, v2, v0 offset1:4
.LBB0_35:
	s_or_b32 exec_lo, exec_lo, s1
	v_and_b32_e32 v76, 7, v56
	s_waitcnt lgkmcnt(0)
	s_barrier
	buffer_gl0_inv
	v_lshrrev_b32_e32 v66, 3, v66
	v_lshlrev_b32_e32 v0, 4, v76
	v_and_b32_e32 v80, 0xff, v56
	v_lshrrev_b32_e32 v68, 3, v68
	v_lshrrev_b32_e32 v77, 3, v63
	v_mul_lo_u32 v83, v66, 24
	global_load_dwordx4 v[0:3], v0, s[8:9] offset:48
	v_mul_lo_u16 v66, 0xab, v80
	v_lshrrev_b32_e32 v67, 3, v67
	v_and_b32_e32 v81, 0xff, v63
	v_mul_lo_u32 v82, v68, 24
	ds_read2st64_b32 v[8:9], v46 offset1:7
	ds_read2_b32 v[22:23], v38 offset0:88 offset1:144
	ds_read2_b32 v[32:33], v41 offset0:72 offset1:128
	;; [unrolled: 1-line block ×5, first 2 shown]
	ds_read_b32 v72, v36
	ds_read_b32 v71, v35
	;; [unrolled: 1-line block ×5, first 2 shown]
	ds_read2_b32 v[26:27], v43 offset0:40 offset1:96
	ds_read_b32 v74, v75
	ds_read_b32 v69, v40
	v_lshrrev_b16 v68, 12, v66
	v_lshrrev_b32_e32 v78, 3, v64
	v_lshrrev_b32_e32 v79, 3, v65
	v_mul_lo_u32 v77, v77, 24
	v_mul_lo_u32 v67, v67, 24
	v_lshrrev_b32_e32 v75, 3, v56
	v_mul_lo_u16 v80, 0xab, v81
	v_mul_lo_u16 v81, v68, 24
	v_mul_lo_u32 v78, v78, 24
	v_mul_lo_u32 v79, v79, 24
	v_mov_b32_e32 v65, 6
	v_mul_u32_u24_e32 v75, 24, v75
	v_lshrrev_b16 v66, 12, v80
	v_or_b32_e32 v77, v77, v76
	v_or_b32_e32 v80, v82, v76
	;; [unrolled: 1-line block ×3, first 2 shown]
	v_sub_nc_u16 v67, v56, v81
	v_or_b32_e32 v75, v75, v76
	v_or_b32_e32 v78, v78, v76
	;; [unrolled: 1-line block ×4, first 2 shown]
	v_lshl_add_u32 v86, v77, 2, 0
	v_mul_u32_u24_sdwa v77, v67, v65 dst_sel:DWORD dst_unused:UNUSED_PAD src0_sel:BYTE_0 src1_sel:DWORD
	v_lshl_add_u32 v87, v78, 2, 0
	v_lshl_add_u32 v90, v79, 2, 0
	;; [unrolled: 1-line block ×4, first 2 shown]
	v_lshlrev_b32_e32 v92, 3, v77
	v_lshl_add_u32 v89, v82, 2, 0
	v_and_b32_e32 v84, 0xff, v64
	v_lshl_add_u32 v85, v75, 2, 0
	v_add_nc_u32_e32 v44, 0x400, v46
	s_waitcnt vmcnt(0) lgkmcnt(0)
	s_barrier
	buffer_gl0_inv
	v_mul_lo_u16 v75, v66, 24
	v_sub_nc_u16 v75, v63, v75
	v_mul_f32_e32 v76, v74, v1
	v_mul_f32_e32 v77, v73, v1
	;; [unrolled: 1-line block ×28, first 2 shown]
	v_fmac_f32_e32 v76, v73, v0
	v_fma_f32 v73, v74, v0, -v77
	v_fmac_f32_e32 v78, v11, v2
	v_fma_f32 v11, v23, v2, -v79
	v_fmac_f32_e32 v80, v7, v0
	v_fma_f32 v7, v9, v0, -v81
	v_fmac_f32_e32 v82, v20, v2
	v_fma_f32 v9, v32, v2, -v83
	v_fmac_f32_e32 v93, v18, v0
	v_fma_f32 v18, v30, v0, -v94
	v_fmac_f32_e32 v95, v21, v2
	v_fma_f32 v20, v33, v2, -v96
	v_fmac_f32_e32 v97, v19, v0
	v_fma_f32 v19, v31, v0, -v98
	v_fmac_f32_e32 v99, v14, v2
	v_fma_f32 v14, v28, v2, -v100
	v_fmac_f32_e32 v101, v12, v0
	v_fma_f32 v12, v24, v0, -v102
	v_fmac_f32_e32 v103, v15, v2
	v_fma_f32 v15, v29, v2, -v104
	v_fmac_f32_e32 v105, v13, v0
	v_fma_f32 v13, v25, v0, -v106
	v_fmac_f32_e32 v107, v16, v2
	v_fma_f32 v16, v26, v2, -v108
	v_fmac_f32_e32 v109, v10, v0
	v_fma_f32 v0, v22, v0, -v1
	v_fmac_f32_e32 v110, v17, v2
	v_fma_f32 v1, v27, v2, -v3
	v_add_f32_e32 v3, v76, v78
	v_add_f32_e32 v21, v73, v11
	v_add_f32_e32 v24, v80, v82
	v_sub_f32_e32 v25, v7, v9
	v_add_f32_e32 v26, v72, v7
	v_add_f32_e32 v7, v7, v9
	v_add_f32_e32 v29, v93, v95
	v_sub_f32_e32 v30, v18, v20
	;; [unrolled: 4-line block ×3, first 2 shown]
	v_add_f32_e32 v17, v8, v73
	v_sub_f32_e32 v22, v76, v78
	v_add_f32_e32 v23, v52, v80
	v_sub_f32_e32 v27, v80, v82
	v_add_f32_e32 v33, v50, v97
	v_add_f32_e32 v73, v97, v99
	v_sub_f32_e32 v74, v19, v14
	v_add_f32_e32 v76, v70, v19
	;; [unrolled: 3-line block ×3, first 2 shown]
	v_sub_f32_e32 v81, v12, v15
	v_add_f32_e32 v83, v54, v12
	v_add_f32_e32 v12, v12, v15
	;; [unrolled: 1-line block ×4, first 2 shown]
	v_sub_f32_e32 v97, v13, v16
	v_add_f32_e32 v98, v53, v13
	v_add_f32_e32 v13, v13, v16
	v_sub_f32_e32 v100, v105, v107
	v_add_f32_e32 v102, v109, v110
	v_sub_f32_e32 v104, v0, v1
	v_add_f32_e32 v105, v69, v0
	v_add_f32_e32 v0, v0, v1
	v_fmac_f32_e32 v6, -0.5, v3
	v_fmac_f32_e32 v8, -0.5, v21
	;; [unrolled: 1-line block ×4, first 2 shown]
	v_add_f32_e32 v28, v51, v93
	v_sub_f32_e32 v32, v93, v95
	v_fmac_f32_e32 v51, -0.5, v29
	v_fmac_f32_e32 v71, -0.5, v18
	v_add_f32_e32 v79, v48, v101
	v_sub_f32_e32 v93, v101, v103
	v_add_f32_e32 v101, v49, v109
	v_sub_f32_e32 v106, v109, v110
	v_add_f32_e32 v2, v2, v78
	v_add_f32_e32 v11, v17, v11
	v_fmac_f32_e32 v50, -0.5, v73
	v_fmac_f32_e32 v70, -0.5, v19
	;; [unrolled: 1-line block ×8, first 2 shown]
	v_fmamk_f32 v0, v10, 0xbf5db3d7, v6
	v_fmac_f32_e32 v6, 0x3f5db3d7, v10
	v_fmamk_f32 v10, v22, 0x3f5db3d7, v8
	v_fmac_f32_e32 v8, 0xbf5db3d7, v22
	v_add_f32_e32 v3, v23, v82
	v_add_f32_e32 v9, v26, v9
	;; [unrolled: 1-line block ×4, first 2 shown]
	v_fmamk_f32 v1, v25, 0xbf5db3d7, v52
	v_fmamk_f32 v21, v27, 0x3f5db3d7, v72
	v_fmac_f32_e32 v52, 0x3f5db3d7, v25
	v_fmac_f32_e32 v72, 0xbf5db3d7, v27
	v_add_f32_e32 v7, v28, v95
	v_add_f32_e32 v16, v98, v16
	v_fmamk_f32 v22, v30, 0xbf5db3d7, v51
	v_fmamk_f32 v23, v32, 0x3f5db3d7, v71
	v_add_f32_e32 v18, v33, v99
	v_add_f32_e32 v14, v76, v14
	;; [unrolled: 1-line block ×6, first 2 shown]
	v_fmac_f32_e32 v51, 0x3f5db3d7, v30
	v_fmac_f32_e32 v71, 0xbf5db3d7, v32
	v_fmamk_f32 v24, v74, 0xbf5db3d7, v50
	v_fmac_f32_e32 v50, 0x3f5db3d7, v74
	v_fmamk_f32 v25, v77, 0x3f5db3d7, v70
	;; [unrolled: 2-line block ×8, first 2 shown]
	v_fmac_f32_e32 v69, 0xbf5db3d7, v106
	ds_write2_b32 v85, v2, v0 offset1:8
	ds_write_b32 v85, v6 offset:64
	ds_write2_b32 v86, v3, v1 offset1:8
	ds_write_b32 v86, v52 offset:64
	;; [unrolled: 2-line block ×7, first 2 shown]
	s_waitcnt lgkmcnt(0)
	s_barrier
	buffer_gl0_inv
	ds_read2_b32 v[0:1], v46 offset1:224
	ds_read_b32 v96, v45
	ds_read2_b32 v[32:33], v42 offset0:104 offset1:160
	ds_read2_b32 v[73:74], v41 offset0:72 offset1:128
	;; [unrolled: 1-line block ×3, first 2 shown]
	ds_read_b32 v7, v36
	ds_read2_b32 v[76:77], v44 offset0:24 offset1:136
	ds_read2_b32 v[78:79], v39 offset0:64 offset1:176
	;; [unrolled: 1-line block ×4, first 2 shown]
	ds_read_b32 v97, v40
	ds_read_b32 v98, v37
	;; [unrolled: 1-line block ×3, first 2 shown]
	s_waitcnt lgkmcnt(0)
	s_barrier
	buffer_gl0_inv
	ds_write2_b32 v85, v11, v10 offset1:8
	ds_write_b32 v85, v8 offset:64
	ds_write2_b32 v86, v9, v21 offset1:8
	ds_write_b32 v86, v72 offset:64
	;; [unrolled: 2-line block ×7, first 2 shown]
	v_mul_lo_u16 v16, 0xab, v84
	v_mul_u32_u24_sdwa v17, v75, v65 dst_sel:DWORD dst_unused:UNUSED_PAD src0_sel:BYTE_0 src1_sel:DWORD
	s_waitcnt lgkmcnt(0)
	s_barrier
	buffer_gl0_inv
	v_lshrrev_b16 v84, 12, v16
	global_load_dwordx4 v[8:11], v92, s[8:9] offset:176
	v_lshlrev_b32_e32 v28, 3, v17
	s_clause 0x1
	global_load_dwordx4 v[12:15], v92, s[8:9] offset:192
	global_load_dwordx4 v[16:19], v92, s[8:9] offset:208
	v_mul_lo_u16 v24, v84, 24
	v_mov_b32_e32 v86, 2
	global_load_dwordx4 v[20:23], v28, s[8:9] offset:176
	v_sub_nc_u16 v85, v64, v24
	s_clause 0x1
	global_load_dwordx4 v[24:27], v28, s[8:9] offset:192
	global_load_dwordx4 v[28:31], v28, s[8:9] offset:208
	v_mul_u32_u24_sdwa v47, v85, v65 dst_sel:DWORD dst_unused:UNUSED_PAD src0_sel:BYTE_0 src1_sel:DWORD
	v_lshlrev_b32_sdwa v85, v86, v85 dst_sel:DWORD dst_unused:UNUSED_PAD src0_sel:DWORD src1_sel:BYTE_0
	v_lshlrev_b32_e32 v65, 3, v47
	s_clause 0x2
	global_load_dwordx4 v[47:50], v65, s[8:9] offset:176
	global_load_dwordx4 v[51:54], v65, s[8:9] offset:192
	;; [unrolled: 1-line block ×3, first 2 shown]
	v_mov_b32_e32 v65, 0x2a0
	ds_read_b32 v99, v40
	ds_read_b32 v101, v45
	v_mul_u32_u24_sdwa v68, v68, v65 dst_sel:DWORD dst_unused:UNUSED_PAD src0_sel:WORD_0 src1_sel:DWORD
	v_mul_u32_u24_sdwa v66, v66, v65 dst_sel:DWORD dst_unused:UNUSED_PAD src0_sel:WORD_0 src1_sel:DWORD
	;; [unrolled: 1-line block ×3, first 2 shown]
	v_lshlrev_b32_sdwa v65, v86, v67 dst_sel:DWORD dst_unused:UNUSED_PAD src0_sel:DWORD src1_sel:BYTE_0
	v_lshlrev_b32_sdwa v67, v86, v75 dst_sel:DWORD dst_unused:UNUSED_PAD src0_sel:DWORD src1_sel:BYTE_0
	ds_read_b32 v75, v37
	v_add3_u32 v103, 0, v84, v85
	v_add3_u32 v100, 0, v68, v65
	;; [unrolled: 1-line block ×3, first 2 shown]
	ds_read2_b32 v[65:66], v42 offset0:104 offset1:160
	ds_read2_b32 v[67:68], v41 offset0:72 offset1:128
	ds_read2_b32 v[84:85], v46 offset1:224
	ds_read2_b32 v[86:87], v41 offset0:184 offset1:240
	ds_read_b32 v104, v36
	ds_read2_b32 v[88:89], v44 offset0:24 offset1:136
	ds_read2_b32 v[90:91], v39 offset0:64 offset1:176
	;; [unrolled: 1-line block ×4, first 2 shown]
	ds_read_b32 v105, v35
	s_waitcnt vmcnt(0) lgkmcnt(0)
	s_barrier
	buffer_gl0_inv
	v_mul_f32_e32 v106, v75, v9
	v_mul_f32_e32 v9, v98, v9
	;; [unrolled: 1-line block ×12, first 2 shown]
	v_fmac_f32_e32 v106, v98, v8
	v_mul_f32_e32 v98, v85, v21
	v_fma_f32 v8, v75, v8, -v9
	v_mul_f32_e32 v9, v1, v21
	v_fmac_f32_e32 v107, v97, v10
	v_mul_f32_e32 v21, v89, v23
	v_fma_f32 v10, v99, v10, -v11
	v_mul_f32_e32 v11, v77, v23
	v_mul_f32_e32 v23, v91, v25
	;; [unrolled: 1-line block ×5, first 2 shown]
	v_fmac_f32_e32 v108, v96, v12
	v_mul_f32_e32 v96, v68, v29
	v_fma_f32 v12, v101, v12, -v13
	v_mul_f32_e32 v13, v74, v29
	v_fmac_f32_e32 v109, v33, v14
	v_fma_f32 v14, v66, v14, -v15
	v_mul_f32_e32 v15, v94, v31
	v_mul_f32_e32 v29, v82, v31
	;; [unrolled: 1-line block ×4, first 2 shown]
	v_fmac_f32_e32 v110, v73, v16
	v_fma_f32 v16, v67, v16, -v17
	v_fmac_f32_e32 v111, v3, v18
	v_fma_f32 v3, v87, v18, -v19
	v_mul_f32_e32 v17, v90, v50
	v_mul_f32_e32 v18, v78, v50
	v_fmac_f32_e32 v98, v1, v20
	v_fma_f32 v1, v85, v20, -v9
	v_fmac_f32_e32 v21, v77, v22
	v_fma_f32 v9, v89, v22, -v11
	v_mul_f32_e32 v22, v86, v70
	v_mul_f32_e32 v50, v2, v70
	;; [unrolled: 6-line block ×3, first 2 shown]
	v_mul_f32_e32 v19, v65, v52
	v_mul_f32_e32 v48, v32, v52
	;; [unrolled: 1-line block ×4, first 2 shown]
	v_fmac_f32_e32 v96, v74, v28
	v_fma_f32 v13, v68, v28, -v13
	v_fmac_f32_e32 v15, v82, v30
	v_fma_f32 v28, v94, v30, -v29
	;; [unrolled: 2-line block ×8, first 2 shown]
	v_add_f32_e32 v32, v106, v111
	v_add_f32_e32 v33, v8, v3
	v_sub_f32_e32 v3, v8, v3
	v_add_f32_e32 v8, v107, v110
	v_sub_f32_e32 v47, v106, v111
	;; [unrolled: 2-line block ×3, first 2 shown]
	v_sub_f32_e32 v10, v10, v16
	v_add_f32_e32 v16, v108, v109
	v_add_f32_e32 v50, v12, v14
	v_sub_f32_e32 v51, v109, v108
	v_sub_f32_e32 v12, v14, v12
	v_add_f32_e32 v14, v98, v15
	v_add_f32_e32 v52, v1, v28
	v_sub_f32_e32 v15, v98, v15
	;; [unrolled: 4-line block ×8, first 2 shown]
	v_sub_f32_e32 v67, v48, v33
	v_sub_f32_e32 v32, v32, v16
	;; [unrolled: 1-line block ×5, first 2 shown]
	v_add_f32_e32 v68, v51, v49
	v_add_f32_e32 v69, v12, v10
	v_sub_f32_e32 v70, v51, v49
	v_sub_f32_e32 v71, v12, v10
	v_sub_f32_e32 v49, v49, v47
	v_sub_f32_e32 v10, v10, v3
	v_add_f32_e32 v72, v28, v14
	v_add_f32_e32 v73, v53, v52
	v_sub_f32_e32 v74, v28, v14
	v_sub_f32_e32 v75, v53, v52
	v_sub_f32_e32 v28, v13, v28
	v_sub_f32_e32 v53, v54, v53
	;; [unrolled: 6-line block ×3, first 2 shown]
	v_add_f32_e32 v80, v29, v25
	v_add_f32_e32 v81, v31, v65
	;; [unrolled: 1-line block ×3, first 2 shown]
	v_sub_f32_e32 v51, v47, v51
	v_sub_f32_e32 v12, v3, v12
	;; [unrolled: 1-line block ×12, first 2 shown]
	v_add_f32_e32 v85, v11, v17
	v_add_f32_e32 v86, v19, v2
	v_sub_f32_e32 v87, v11, v17
	v_sub_f32_e32 v88, v19, v2
	;; [unrolled: 1-line block ×4, first 2 shown]
	v_add_f32_e32 v20, v50, v30
	v_add_f32_e32 v30, v68, v47
	;; [unrolled: 1-line block ×3, first 2 shown]
	v_mul_f32_e32 v32, 0x3f4a47b2, v32
	v_mul_f32_e32 v33, 0x3f4a47b2, v33
	;; [unrolled: 1-line block ×8, first 2 shown]
	v_add_f32_e32 v13, v13, v72
	v_add_f32_e32 v54, v54, v73
	;; [unrolled: 1-line block ×4, first 2 shown]
	v_mul_f32_e32 v72, 0x3d64c772, v28
	v_mul_f32_e32 v73, 0x3d64c772, v53
	;; [unrolled: 1-line block ×6, first 2 shown]
	v_add_f32_e32 v18, v18, v80
	v_add_f32_e32 v22, v22, v81
	;; [unrolled: 1-line block ×3, first 2 shown]
	v_sub_f32_e32 v11, v26, v11
	v_sub_f32_e32 v19, v27, v19
	v_mul_f32_e32 v14, 0x3f4a47b2, v14
	v_mul_f32_e32 v52, 0x3f4a47b2, v52
	v_add_f32_e32 v26, v85, v26
	v_add_f32_e32 v27, v86, v27
	v_mul_f32_e32 v25, 0x3f4a47b2, v25
	v_mul_f32_e32 v65, 0x3f4a47b2, v65
	;; [unrolled: 1-line block ×8, first 2 shown]
	v_add_f32_e32 v84, v84, v20
	v_fmamk_f32 v8, v8, 0x3d64c772, v32
	v_fmamk_f32 v48, v48, 0x3d64c772, v33
	v_fma_f32 v47, 0x3f3bfb3b, v66, -v47
	v_fma_f32 v50, 0x3f3bfb3b, v67, -v50
	;; [unrolled: 1-line block ×4, first 2 shown]
	v_fmamk_f32 v66, v51, 0xbeae86e6, v68
	v_fmamk_f32 v67, v12, 0xbeae86e6, v69
	v_fma_f32 v49, 0xbf5ff5aa, v49, -v68
	v_fma_f32 v10, 0xbf5ff5aa, v10, -v69
	;; [unrolled: 1-line block ×4, first 2 shown]
	v_add_f32_e32 v7, v7, v13
	v_add_f32_e32 v68, v104, v54
	v_fma_f32 v69, 0x3f3bfb3b, v74, -v72
	v_fma_f32 v70, 0x3f3bfb3b, v75, -v73
	v_fmamk_f32 v71, v23, 0xbeae86e6, v76
	v_fmamk_f32 v72, v24, 0xbeae86e6, v77
	v_fma_f32 v21, 0xbf5ff5aa, v21, -v76
	v_fma_f32 v9, 0xbf5ff5aa, v9, -v77
	;; [unrolled: 1-line block ×4, first 2 shown]
	v_add_f32_e32 v6, v6, v18
	v_add_f32_e32 v73, v105, v22
	v_fmamk_f32 v16, v16, 0xbf955555, v0
	v_fmamk_f32 v28, v28, 0x3d64c772, v14
	;; [unrolled: 1-line block ×3, first 2 shown]
	v_fma_f32 v14, 0xbf3bfb3b, v74, -v14
	v_fma_f32 v52, 0xbf3bfb3b, v75, -v52
	v_fmamk_f32 v29, v29, 0x3d64c772, v25
	v_fmamk_f32 v31, v31, 0x3d64c772, v65
	v_fma_f32 v74, 0x3f3bfb3b, v82, -v80
	v_fma_f32 v75, 0x3f3bfb3b, v83, -v81
	;; [unrolled: 1-line block ×4, first 2 shown]
	v_fmamk_f32 v76, v11, 0xbeae86e6, v85
	v_fmamk_f32 v77, v19, 0xbeae86e6, v86
	v_fma_f32 v17, 0xbf5ff5aa, v17, -v85
	v_fma_f32 v2, 0xbf5ff5aa, v2, -v86
	v_fma_f32 v11, 0x3eae86e6, v11, -v87
	v_fma_f32 v19, 0x3eae86e6, v19, -v88
	v_fmamk_f32 v20, v20, 0xbf955555, v84
	v_fmac_f32_e32 v67, 0xbee1c552, v3
	v_fmac_f32_e32 v10, 0xbee1c552, v3
	;; [unrolled: 1-line block ×3, first 2 shown]
	v_fmamk_f32 v3, v13, 0xbf955555, v7
	v_fmamk_f32 v13, v54, 0xbf955555, v68
	v_fmac_f32_e32 v71, 0xbee1c552, v15
	v_fmac_f32_e32 v72, 0xbee1c552, v1
	;; [unrolled: 1-line block ×6, first 2 shown]
	v_fmamk_f32 v1, v18, 0xbf955555, v6
	v_fmamk_f32 v15, v22, 0xbf955555, v73
	v_add_f32_e32 v8, v8, v16
	v_add_f32_e32 v22, v47, v16
	;; [unrolled: 1-line block ×3, first 2 shown]
	v_fmac_f32_e32 v66, 0xbee1c552, v30
	v_fmac_f32_e32 v49, 0xbee1c552, v30
	;; [unrolled: 1-line block ×9, first 2 shown]
	v_add_f32_e32 v18, v48, v20
	v_add_f32_e32 v26, v50, v20
	;; [unrolled: 1-line block ×17, first 2 shown]
	v_sub_f32_e32 v52, v22, v10
	v_add_f32_e32 v10, v10, v22
	v_sub_f32_e32 v12, v16, v12
	v_sub_f32_e32 v8, v8, v67
	;; [unrolled: 1-line block ×4, first 2 shown]
	v_add_f32_e32 v53, v49, v26
	v_sub_f32_e32 v26, v26, v49
	v_add_f32_e32 v49, v51, v20
	v_add_f32_e32 v51, v66, v18
	;; [unrolled: 1-line block ×3, first 2 shown]
	v_sub_f32_e32 v54, v28, v71
	v_add_f32_e32 v18, v24, v3
	v_sub_f32_e32 v65, v13, v23
	v_sub_f32_e32 v20, v30, v9
	v_add_f32_e32 v66, v21, v32
	v_add_f32_e32 v9, v9, v30
	v_sub_f32_e32 v30, v32, v21
	v_sub_f32_e32 v3, v3, v24
	v_add_f32_e32 v23, v23, v13
	v_sub_f32_e32 v13, v27, v72
	v_add_f32_e32 v24, v71, v28
	v_add_f32_e32 v21, v77, v14
	;; [unrolled: 1-line block ×3, first 2 shown]
	v_sub_f32_e32 v28, v15, v11
	v_sub_f32_e32 v32, v31, v2
	v_add_f32_e32 v67, v17, v33
	v_add_f32_e32 v2, v2, v31
	v_sub_f32_e32 v31, v33, v17
	v_sub_f32_e32 v1, v1, v19
	v_add_f32_e32 v33, v11, v15
	v_sub_f32_e32 v11, v14, v77
	ds_write2_b32 v100, v0, v25 offset1:24
	ds_write2_b32 v100, v48, v52 offset0:48 offset1:72
	ds_write2_b32 v100, v10, v12 offset0:96 offset1:120
	ds_write_b32 v100, v8 offset:576
	ds_write2_b32 v102, v7, v16 offset1:24
	ds_write2_b32 v102, v18, v20 offset0:48 offset1:72
	ds_write2_b32 v102, v9, v3 offset0:96 offset1:120
	ds_write_b32 v102, v13 offset:576
	;; [unrolled: 4-line block ×3, first 2 shown]
	s_waitcnt lgkmcnt(0)
	s_barrier
	buffer_gl0_inv
	ds_read2_b32 v[0:1], v46 offset1:224
	ds_read_b32 v20, v45
	ds_read2_b32 v[14:15], v42 offset0:104 offset1:160
	ds_read2_b32 v[2:3], v41 offset0:72 offset1:128
	;; [unrolled: 1-line block ×3, first 2 shown]
	ds_read_b32 v18, v36
	ds_read2_b32 v[6:7], v44 offset0:24 offset1:136
	ds_read2_b32 v[8:9], v39 offset0:64 offset1:176
	;; [unrolled: 1-line block ×4, first 2 shown]
	ds_read_b32 v21, v40
	ds_read_b32 v22, v37
	;; [unrolled: 1-line block ×3, first 2 shown]
	v_sub_f32_e32 v27, v29, v76
	v_add_f32_e32 v25, v76, v29
	s_waitcnt lgkmcnt(0)
	s_barrier
	buffer_gl0_inv
	ds_write2_b32 v100, v84, v47 offset1:24
	ds_write2_b32 v100, v50, v53 offset0:48 offset1:72
	ds_write2_b32 v100, v26, v49 offset0:96 offset1:120
	ds_write_b32 v100, v51 offset:576
	ds_write2_b32 v102, v68, v54 offset1:24
	ds_write2_b32 v102, v65, v66 offset0:48 offset1:72
	ds_write2_b32 v102, v30, v23 offset0:96 offset1:120
	ds_write_b32 v102, v24 offset:576
	;; [unrolled: 4-line block ×3, first 2 shown]
	s_waitcnt lgkmcnt(0)
	s_barrier
	buffer_gl0_inv
	s_and_saveexec_b32 s0, vcc_lo
	s_cbranch_execz .LBB0_37
; %bb.36:
	v_mul_u32_u24_e32 v23, 6, v56
	v_mov_b32_e32 v32, 0
	v_mad_u64_u32 v[41:42], null, s2, v56, 0
	v_add_nc_u32_e32 v88, 0xc00, v46
	v_lshlrev_b32_e32 v31, 3, v23
	v_add_nc_u32_e32 v90, 0x1000, v46
	v_add_nc_u32_e32 v92, 0xa00, v46
	;; [unrolled: 1-line block ×3, first 2 shown]
	v_mad_u64_u32 v[86:87], null, s2, v61, 0
	s_clause 0x2
	global_load_dwordx4 v[23:26], v31, s[8:9] offset:1328
	global_load_dwordx4 v[27:30], v31, s[8:9] offset:1360
	;; [unrolled: 1-line block ×3, first 2 shown]
	v_mul_i32_i24_e32 v31, 6, v64
	v_mov_b32_e32 v33, v42
	v_lshlrev_b64 v[38:39], 3, v[31:32]
	v_mul_i32_i24_e32 v31, 6, v63
	v_add_nc_u32_e32 v63, 0x800, v46
	v_lshlrev_b64 v[31:32], 3, v[31:32]
	v_add_co_u32 v38, vcc_lo, s8, v38
	v_add_co_ci_u32_e32 v39, vcc_lo, s9, v39, vcc_lo
	s_clause 0x2
	global_load_dwordx4 v[51:54], v[38:39], off offset:1328
	global_load_dwordx4 v[64:67], v[38:39], off offset:1360
	;; [unrolled: 1-line block ×3, first 2 shown]
	v_add_co_u32 v31, vcc_lo, s8, v31
	v_add_co_ci_u32_e32 v32, vcc_lo, s9, v32, vcc_lo
	s_clause 0x2
	global_load_dwordx4 v[72:75], v[31:32], off offset:1328
	global_load_dwordx4 v[76:79], v[31:32], off offset:1360
	;; [unrolled: 1-line block ×3, first 2 shown]
	ds_read2_b32 v[31:32], v44 offset0:24 offset1:136
	v_mad_u64_u32 v[43:44], null, s2, v62, 0
	ds_read2_b32 v[38:39], v46 offset1:224
	ds_read_b32 v94, v37
	ds_read_b32 v95, v45
	;; [unrolled: 1-line block ×5, first 2 shown]
	v_mad_u64_u32 v[36:37], null, s3, v56, v[33:34]
	ds_read2_b32 v[45:46], v63 offset0:104 offset1:160
	ds_read2_b32 v[84:85], v88 offset0:184 offset1:240
	v_mov_b32_e32 v35, v44
	ds_read2_b32 v[88:89], v88 offset0:72 offset1:128
	ds_read2_b32 v[90:91], v90 offset0:40 offset1:96
	v_mov_b32_e32 v33, v87
	v_add_co_u32 v4, vcc_lo, s12, v4
	v_mad_u64_u32 v[62:63], null, s3, v62, v[35:36]
	v_mov_b32_e32 v42, v36
	v_mad_u64_u32 v[35:36], null, s2, v60, 0
	v_add_co_ci_u32_e32 v5, vcc_lo, s13, v5, vcc_lo
	v_lshlrev_b64 v[40:41], 3, v[41:42]
	v_mov_b32_e32 v44, v62
	ds_read2_b32 v[62:63], v92 offset0:88 offset1:144
	ds_read2_b32 v[92:93], v93 offset0:64 offset1:176
	v_lshlrev_b64 v[42:43], 3, v[43:44]
	v_add_co_u32 v40, vcc_lo, v4, v40
	v_add_co_ci_u32_e32 v41, vcc_lo, v5, v41, vcc_lo
	v_add_co_u32 v42, vcc_lo, v4, v42
	v_add_co_ci_u32_e32 v43, vcc_lo, v5, v43, vcc_lo
	s_waitcnt vmcnt(8) lgkmcnt(10)
	v_mul_f32_e32 v37, v24, v94
	s_waitcnt vmcnt(7) lgkmcnt(4)
	v_mul_f32_e32 v44, v30, v85
	s_waitcnt vmcnt(6)
	v_mul_f32_e32 v87, v50, v46
	v_mul_f32_e32 v99, v48, v95
	;; [unrolled: 1-line block ×3, first 2 shown]
	s_waitcnt lgkmcnt(3)
	v_mul_f32_e32 v101, v28, v88
	v_mul_f32_e32 v30, v17, v30
	;; [unrolled: 1-line block ×7, first 2 shown]
	v_fmac_f32_e32 v37, v22, v23
	v_fmac_f32_e32 v44, v17, v29
	;; [unrolled: 1-line block ×6, first 2 shown]
	v_fma_f32 v2, v29, v85, -v30
	v_fma_f32 v15, v23, v94, -v24
	;; [unrolled: 1-line block ×6, first 2 shown]
	s_waitcnt vmcnt(5)
	v_mul_f32_e32 v23, v52, v31
	s_waitcnt vmcnt(4) lgkmcnt(2)
	v_mul_f32_e32 v24, v67, v91
	s_waitcnt vmcnt(3) lgkmcnt(1)
	v_mul_f32_e32 v25, v71, v63
	v_mul_f32_e32 v26, v69, v45
	s_waitcnt lgkmcnt(0)
	v_mul_f32_e32 v27, v54, v92
	v_mul_f32_e32 v28, v65, v84
	;; [unrolled: 1-line block ×8, first 2 shown]
	v_sub_f32_e32 v50, v37, v44
	v_sub_f32_e32 v52, v87, v99
	v_sub_f32_e32 v54, v100, v101
	v_add_f32_e32 v65, v15, v2
	v_add_f32_e32 v67, v20, v17
	;; [unrolled: 1-line block ×6, first 2 shown]
	v_sub_f32_e32 v2, v15, v2
	v_sub_f32_e32 v15, v20, v17
	v_sub_f32_e32 v17, v22, v21
	v_fmac_f32_e32 v23, v6, v51
	v_fmac_f32_e32 v24, v13, v66
	;; [unrolled: 1-line block ×6, first 2 shown]
	v_fma_f32 v6, v66, v91, -v29
	v_fma_f32 v8, v51, v31, -v30
	;; [unrolled: 1-line block ×6, first 2 shown]
	s_waitcnt vmcnt(2)
	v_mul_f32_e32 v20, v73, v39
	s_waitcnt vmcnt(1)
	v_mul_f32_e32 v21, v79, v90
	;; [unrolled: 2-line block ×3, first 2 shown]
	v_mul_f32_e32 v29, v81, v93
	v_mul_f32_e32 v30, v75, v32
	;; [unrolled: 1-line block ×9, first 2 shown]
	v_sub_f32_e32 v53, v50, v52
	v_sub_f32_e32 v63, v52, v54
	v_add_f32_e32 v52, v52, v54
	v_sub_f32_e32 v64, v65, v67
	v_sub_f32_e32 v66, v67, v69
	v_add_f32_e32 v68, v65, v69
	v_sub_f32_e32 v70, v37, v44
	v_sub_f32_e32 v73, v44, v71
	v_add_f32_e32 v75, v37, v71
	v_sub_f32_e32 v77, v2, v15
	v_sub_f32_e32 v79, v15, v17
	v_add_f32_e32 v15, v15, v17
	v_sub_f32_e32 v54, v54, v50
	v_sub_f32_e32 v65, v69, v65
	;; [unrolled: 1-line block ×7, first 2 shown]
	v_add_f32_e32 v83, v8, v6
	v_add_f32_e32 v84, v13, v11
	;; [unrolled: 1-line block ×6, first 2 shown]
	v_sub_f32_e32 v6, v8, v6
	v_sub_f32_e32 v8, v13, v11
	;; [unrolled: 1-line block ×3, first 2 shown]
	v_fmac_f32_e32 v20, v1, v72
	v_fmac_f32_e32 v21, v12, v78
	v_fmac_f32_e32 v22, v10, v82
	v_fmac_f32_e32 v29, v9, v80
	v_fmac_f32_e32 v30, v7, v74
	v_fmac_f32_e32 v31, v3, v76
	v_fma_f32 v1, v78, v90, -v45
	v_fma_f32 v3, v72, v39, -v46
	;; [unrolled: 1-line block ×6, first 2 shown]
	v_mul_f32_e32 v13, 0x3f08b237, v63
	v_add_f32_e32 v14, v50, v52
	v_mul_f32_e32 v16, 0x3f4a47b2, v64
	v_mul_f32_e32 v26, 0x3d64c772, v66
	v_add_f32_e32 v27, v67, v68
	v_mul_f32_e32 v28, 0x3f4a47b2, v70
	;; [unrolled: 3-line block ×3, first 2 shown]
	v_add_f32_e32 v2, v2, v15
	v_mul_f32_e32 v15, 0xbf5ff5aa, v54
	v_mul_f32_e32 v45, 0xbf5ff5aa, v17
	v_sub_f32_e32 v47, v71, v81
	v_add_f32_e32 v48, v71, v81
	v_sub_f32_e32 v50, v84, v85
	v_add_f32_e32 v51, v83, v85
	v_sub_f32_e32 v52, v23, v24
	v_sub_f32_e32 v62, v24, v25
	v_add_f32_e32 v63, v23, v25
	v_sub_f32_e32 v66, v6, v8
	;; [unrolled: 3-line block ×3, first 2 shown]
	v_sub_f32_e32 v11, v11, v6
	v_sub_f32_e32 v25, v20, v21
	;; [unrolled: 1-line block ×4, first 2 shown]
	v_add_f32_e32 v74, v3, v1
	v_add_f32_e32 v76, v12, v10
	v_add_f32_e32 v20, v20, v21
	v_add_f32_e32 v21, v22, v29
	v_add_f32_e32 v22, v30, v31
	v_sub_f32_e32 v49, v83, v84
	v_sub_f32_e32 v68, v81, v69
	v_add_f32_e32 v75, v9, v7
	v_sub_f32_e32 v29, v3, v1
	v_sub_f32_e32 v3, v9, v7
	;; [unrolled: 1-line block ×3, first 2 shown]
	v_fmamk_f32 v30, v53, 0xbeae86e6, v13
	v_fmamk_f32 v9, v64, 0x3f4a47b2, v26
	v_add_f32_e32 v1, v38, v27
	v_fmamk_f32 v10, v70, 0x3f4a47b2, v32
	v_add_f32_e32 v0, v0, v39
	v_fmamk_f32 v31, v77, 0xbeae86e6, v44
	v_fma_f32 v38, 0x3eae86e6, v53, -v15
	v_fma_f32 v12, 0xbf3bfb3b, v65, -v16
	;; [unrolled: 1-line block ×8, first 2 shown]
	v_mul_f32_e32 v28, 0x3f08b237, v47
	v_add_f32_e32 v32, v69, v48
	v_mul_f32_e32 v44, 0x3d64c772, v50
	v_add_f32_e32 v45, v84, v51
	v_mul_f32_e32 v47, 0x3f4a47b2, v52
	v_mul_f32_e32 v48, 0x3d64c772, v62
	v_add_f32_e32 v24, v24, v63
	v_mul_f32_e32 v50, 0x3f08b237, v67
	v_mul_f32_e32 v51, 0xbf5ff5aa, v11
	v_sub_f32_e32 v53, v25, v72
	v_sub_f32_e32 v54, v72, v73
	v_add_f32_e32 v62, v72, v73
	v_add_f32_e32 v65, v74, v76
	;; [unrolled: 1-line block ×3, first 2 shown]
	v_sub_f32_e32 v46, v69, v71
	v_sub_f32_e32 v71, v85, v83
	v_mul_f32_e32 v37, 0x3f4a47b2, v49
	v_add_f32_e32 v6, v6, v8
	v_mul_f32_e32 v8, 0xbf5ff5aa, v68
	v_sub_f32_e32 v63, v74, v75
	v_sub_f32_e32 v64, v75, v76
	;; [unrolled: 1-line block ×6, first 2 shown]
	v_add_f32_e32 v79, v3, v7
	v_sub_f32_e32 v73, v73, v25
	v_sub_f32_e32 v74, v76, v74
	;; [unrolled: 1-line block ×4, first 2 shown]
	v_fmamk_f32 v7, v27, 0xbf955555, v1
	v_fmamk_f32 v27, v39, 0xbf955555, v0
	v_fmac_f32_e32 v31, 0xbee1c552, v2
	v_fmac_f32_e32 v70, 0xbee1c552, v2
	;; [unrolled: 1-line block ×3, first 2 shown]
	v_add_f32_e32 v3, v97, v45
	v_fmamk_f32 v52, v52, 0x3f4a47b2, v48
	v_add_f32_e32 v2, v19, v24
	v_fmamk_f32 v76, v66, 0xbeae86e6, v50
	v_fma_f32 v47, 0xbf3bfb3b, v23, -v47
	v_fma_f32 v51, 0x3eae86e6, v66, -v51
	;; [unrolled: 1-line block ×4, first 2 shown]
	v_add_f32_e32 v48, v75, v65
	v_add_f32_e32 v21, v21, v72
	v_fmac_f32_e32 v30, 0xbee1c552, v14
	v_fmac_f32_e32 v38, 0xbee1c552, v14
	;; [unrolled: 1-line block ×3, first 2 shown]
	v_fmamk_f32 v39, v46, 0xbeae86e6, v28
	v_fmamk_f32 v49, v49, 0x3f4a47b2, v44
	v_fma_f32 v46, 0x3eae86e6, v46, -v8
	v_fma_f32 v37, 0xbf3bfb3b, v71, -v37
	;; [unrolled: 1-line block ×4, first 2 shown]
	v_mul_f32_e32 v8, 0x3f08b237, v54
	v_add_f32_e32 v25, v25, v62
	v_mul_f32_e32 v11, 0x3f4a47b2, v63
	v_mul_f32_e32 v14, 0x3d64c772, v64
	;; [unrolled: 1-line block ×7, first 2 shown]
	v_add_f32_e32 v66, v9, v7
	v_add_f32_e32 v68, v10, v27
	v_add_f32_e32 v69, v12, v7
	v_add_f32_e32 v71, v15, v27
	v_add_f32_e32 v15, v16, v7
	v_add_f32_e32 v16, v13, v27
	v_fmamk_f32 v27, v45, 0xbf955555, v3
	v_fmamk_f32 v24, v24, 0xbf955555, v2
	v_fmac_f32_e32 v76, 0xbee1c552, v6
	v_fmac_f32_e32 v51, 0xbee1c552, v6
	;; [unrolled: 1-line block ×3, first 2 shown]
	v_add_f32_e32 v7, v98, v48
	v_add_f32_e32 v6, v18, v21
	;; [unrolled: 1-line block ×3, first 2 shown]
	v_fmac_f32_e32 v39, 0xbee1c552, v32
	v_fmac_f32_e32 v46, 0xbee1c552, v32
	;; [unrolled: 1-line block ×3, first 2 shown]
	v_fmamk_f32 v32, v53, 0xbeae86e6, v8
	v_fmamk_f32 v45, v63, 0x3f4a47b2, v14
	v_fmamk_f32 v63, v67, 0x3f4a47b2, v54
	v_fmamk_f32 v67, v77, 0xbeae86e6, v62
	v_fma_f32 v53, 0x3eae86e6, v53, -v64
	v_fma_f32 v64, 0xbf3bfb3b, v74, -v11
	;; [unrolled: 1-line block ×8, first 2 shown]
	v_sub_f32_e32 v8, v68, v31
	v_add_f32_e32 v11, v38, v69
	v_sub_f32_e32 v13, v15, v26
	v_add_f32_e32 v12, v17, v16
	v_add_f32_e32 v15, v26, v15
	v_sub_f32_e32 v14, v16, v17
	v_sub_f32_e32 v17, v69, v38
	v_add_f32_e32 v18, v31, v68
	v_add_f32_e32 v16, v49, v27
	;; [unrolled: 1-line block ×6, first 2 shown]
	v_fmamk_f32 v44, v48, 0xbf955555, v7
	v_fmamk_f32 v47, v21, 0xbf955555, v6
	v_add_f32_e32 v9, v30, v66
	v_sub_f32_e32 v19, v66, v30
	v_add_f32_e32 v30, v52, v24
	v_fmac_f32_e32 v32, 0xbee1c552, v25
	v_fmac_f32_e32 v67, 0xbee1c552, v29
	;; [unrolled: 1-line block ×6, first 2 shown]
	v_add_f32_e32 v21, v39, v16
	v_add_f32_e32 v23, v46, v31
	v_sub_f32_e32 v22, v37, v51
	v_sub_f32_e32 v25, v26, v28
	v_add_f32_e32 v24, v50, v38
	v_add_f32_e32 v27, v28, v26
	v_sub_f32_e32 v26, v38, v50
	v_sub_f32_e32 v29, v31, v46
	v_add_f32_e32 v28, v51, v37
	v_sub_f32_e32 v31, v16, v39
	v_add_f32_e32 v39, v63, v47
	v_add_f32_e32 v50, v64, v44
	;; [unrolled: 1-line block ×6, first 2 shown]
	v_sub_f32_e32 v37, v39, v67
	v_add_f32_e32 v45, v53, v50
	v_sub_f32_e32 v44, v52, v65
	v_sub_f32_e32 v47, v48, v73
	v_add_f32_e32 v46, v62, v51
	v_add_f32_e32 v49, v73, v48
	v_sub_f32_e32 v48, v51, v62
	v_sub_f32_e32 v51, v50, v53
	v_add_f32_e32 v50, v65, v52
	v_add_f32_e32 v52, v67, v39
	v_add_nc_u32_e32 v39, 0x2a0, v56
	v_add_nc_u32_e32 v54, 0x348, v56
	v_add_f32_e32 v38, v32, v16
	v_sub_f32_e32 v53, v16, v32
	v_mad_u64_u32 v[32:33], null, s3, v61, v[33:34]
	v_mad_u64_u32 v[61:62], null, s2, v39, 0
	;; [unrolled: 1-line block ×3, first 2 shown]
	v_mov_b32_e32 v16, v36
	global_store_dwordx2 v[40:41], v[0:1], off
	global_store_dwordx2 v[42:43], v[18:19], off
	v_mov_b32_e32 v87, v32
	v_mad_u64_u32 v[42:43], null, s2, v58, 0
	v_mad_u64_u32 v[65:66], null, s3, v60, v[16:17]
	v_mov_b32_e32 v0, v62
	v_mov_b32_e32 v1, v64
	v_lshlrev_b64 v[18:19], 3, v[86:87]
	v_add_f32_e32 v16, v70, v71
	v_sub_f32_e32 v10, v71, v70
	v_sub_f32_e32 v20, v30, v76
	v_mad_u64_u32 v[32:33], null, s3, v39, v[0:1]
	v_mad_u64_u32 v[0:1], null, s3, v54, v[1:2]
	v_add_nc_u32_e32 v54, 0x3f0, v56
	v_mov_b32_e32 v36, v65
	v_add_co_u32 v18, vcc_lo, v4, v18
	v_mov_b32_e32 v62, v32
	v_mad_u64_u32 v[39:40], null, s2, v54, 0
	v_lshlrev_b64 v[35:36], 3, v[35:36]
	v_mov_b32_e32 v64, v0
	v_add_co_ci_u32_e32 v19, vcc_lo, v5, v19, vcc_lo
	v_lshlrev_b64 v[32:33], 3, v[61:62]
	v_mad_u64_u32 v[60:61], null, s2, v59, 0
	v_add_co_u32 v0, vcc_lo, v4, v35
	v_mov_b32_e32 v35, v40
	v_lshlrev_b64 v[40:41], 3, v[63:64]
	v_add_co_ci_u32_e32 v1, vcc_lo, v5, v36, vcc_lo
	v_add_co_u32 v32, vcc_lo, v4, v32
	v_mad_u64_u32 v[35:36], null, s3, v54, v[35:36]
	v_add_co_ci_u32_e32 v33, vcc_lo, v5, v33, vcc_lo
	v_mov_b32_e32 v36, v43
	v_add_co_u32 v62, vcc_lo, v4, v40
	v_add_co_ci_u32_e32 v63, vcc_lo, v5, v41, vcc_lo
	v_mov_b32_e32 v41, v61
	v_mov_b32_e32 v40, v35
	v_mad_u64_u32 v[35:36], null, s3, v58, v[36:37]
	v_mad_u64_u32 v[64:65], null, s2, v57, 0
	;; [unrolled: 1-line block ×3, first 2 shown]
	global_store_dwordx2 v[18:19], v[16:17], off
	global_store_dwordx2 v[0:1], v[14:15], off
	;; [unrolled: 1-line block ×4, first 2 shown]
	v_mad_u64_u32 v[11:12], null, s2, v34, 0
	v_mov_b32_e32 v43, v35
	v_lshlrev_b64 v[0:1], 3, v[39:40]
	v_mov_b32_e32 v10, v65
	v_mov_b32_e32 v61, v58
	v_add_f32_e32 v30, v76, v30
	v_lshlrev_b64 v[13:14], 3, v[42:43]
	v_add_co_u32 v0, vcc_lo, v4, v0
	v_lshlrev_b64 v[15:16], 3, v[60:61]
	v_mad_u64_u32 v[17:18], null, s3, v57, v[10:11]
	v_mov_b32_e32 v10, v12
	v_add_co_ci_u32_e32 v1, vcc_lo, v5, v1, vcc_lo
	v_add_co_u32 v12, vcc_lo, v4, v13
	v_add_co_ci_u32_e32 v13, vcc_lo, v5, v14, vcc_lo
	v_mad_u64_u32 v[18:19], null, s3, v34, v[10:11]
	v_add_co_u32 v14, vcc_lo, v4, v15
	v_add_co_ci_u32_e32 v15, vcc_lo, v5, v16, vcc_lo
	global_store_dwordx2 v[0:1], v[8:9], off
	global_store_dwordx2 v[12:13], v[6:7], off
	v_lshrrev_b32_e32 v8, 3, v55
	v_mov_b32_e32 v65, v17
	v_add_nc_u32_e32 v13, 0x2d8, v56
	global_store_dwordx2 v[14:15], v[52:53], off
	v_mov_b32_e32 v12, v18
	v_or_b32_e32 v15, 0x380, v56
	v_mul_hi_u32 v14, 0x18618619, v8
	v_lshlrev_b64 v[0:1], 3, v[64:65]
	v_mad_u64_u32 v[6:7], null, s2, v13, 0
	v_lshlrev_b64 v[8:9], 3, v[11:12]
	v_mad_u64_u32 v[10:11], null, s2, v15, 0
	v_add_nc_u32_e32 v18, 0x428, v56
	v_lshrrev_b32_e32 v16, 1, v14
	v_add_co_u32 v0, vcc_lo, v4, v0
	v_add_co_ci_u32_e32 v1, vcc_lo, v5, v1, vcc_lo
	v_mad_u64_u32 v[12:13], null, s3, v13, v[7:8]
	v_add_co_u32 v8, vcc_lo, v4, v8
	v_mov_b32_e32 v7, v11
	v_mad_u64_u32 v[13:14], null, s2, v18, 0
	v_mad_u32_u24 v19, 0x3f0, v16, v55
	global_store_dwordx2 v[0:1], v[50:51], off
	v_mad_u64_u32 v[15:16], null, s3, v15, v[7:8]
	v_mov_b32_e32 v7, v12
	v_mad_u64_u32 v[16:17], null, s2, v19, 0
	v_mov_b32_e32 v0, v14
	v_add_co_ci_u32_e32 v9, vcc_lo, v5, v9, vcc_lo
	v_lshlrev_b64 v[6:7], 3, v[6:7]
	v_mov_b32_e32 v11, v15
	v_mad_u64_u32 v[0:1], null, s3, v18, v[0:1]
	v_mov_b32_e32 v1, v17
	v_add_nc_u32_e32 v15, 0xa8, v19
	global_store_dwordx2 v[8:9], v[48:49], off
	v_lshlrev_b64 v[8:9], 3, v[10:11]
	v_add_co_u32 v6, vcc_lo, v4, v6
	v_mad_u64_u32 v[10:11], null, s3, v19, v[1:2]
	v_mad_u64_u32 v[11:12], null, s2, v15, 0
	v_add_co_ci_u32_e32 v7, vcc_lo, v5, v7, vcc_lo
	v_mov_b32_e32 v14, v0
	v_add_co_u32 v0, vcc_lo, v4, v8
	global_store_dwordx2 v[6:7], v[46:47], off
	v_mov_b32_e32 v6, v12
	v_lshlrev_b64 v[7:8], 3, v[13:14]
	v_add_co_ci_u32_e32 v1, vcc_lo, v5, v9, vcc_lo
	v_mov_b32_e32 v17, v10
	v_add_nc_u32_e32 v13, 0x150, v19
	v_add_nc_u32_e32 v14, 0x1f8, v19
	v_mad_u64_u32 v[9:10], null, s3, v15, v[6:7]
	global_store_dwordx2 v[0:1], v[44:45], off
	v_lshlrev_b64 v[0:1], 3, v[16:17]
	v_add_co_u32 v6, vcc_lo, v4, v7
	v_add_co_ci_u32_e32 v7, vcc_lo, v5, v8, vcc_lo
	v_mov_b32_e32 v12, v9
	v_add_co_u32 v0, vcc_lo, v4, v0
	v_mad_u64_u32 v[8:9], null, s2, v13, 0
	v_add_co_ci_u32_e32 v1, vcc_lo, v5, v1, vcc_lo
	v_add_nc_u32_e32 v15, 0x2a0, v19
	global_store_dwordx2 v[6:7], v[37:38], off
	v_add_nc_u32_e32 v17, 0x348, v19
	global_store_dwordx2 v[0:1], v[2:3], off
	v_mad_u64_u32 v[2:3], null, s2, v14, 0
	v_mov_b32_e32 v6, v9
	v_lshlrev_b64 v[0:1], 3, v[11:12]
	v_mad_u64_u32 v[10:11], null, s2, v15, 0
	v_add_nc_u32_e32 v18, 0x3f0, v19
	v_mad_u64_u32 v[6:7], null, s3, v13, v[6:7]
	v_mad_u64_u32 v[12:13], null, s3, v14, v[3:4]
	;; [unrolled: 1-line block ×3, first 2 shown]
	v_add_co_u32 v0, vcc_lo, v4, v0
	v_add_co_ci_u32_e32 v1, vcc_lo, v5, v1, vcc_lo
	v_mov_b32_e32 v3, v11
	v_mov_b32_e32 v9, v6
	v_mad_u64_u32 v[6:7], null, s2, v18, 0
	global_store_dwordx2 v[0:1], v[30:31], off
	v_mad_u64_u32 v[15:16], null, s3, v15, v[3:4]
	v_mov_b32_e32 v0, v14
	v_mov_b32_e32 v3, v12
	v_lshlrev_b64 v[8:9], 3, v[8:9]
	v_mad_u64_u32 v[0:1], null, s3, v17, v[0:1]
	v_lshlrev_b64 v[2:3], 3, v[2:3]
	v_mov_b32_e32 v1, v7
	v_mov_b32_e32 v11, v15
	v_add_co_u32 v8, vcc_lo, v4, v8
	v_add_co_ci_u32_e32 v9, vcc_lo, v5, v9, vcc_lo
	v_mad_u64_u32 v[15:16], null, s3, v18, v[1:2]
	v_mov_b32_e32 v14, v0
	v_lshlrev_b64 v[10:11], 3, v[10:11]
	v_add_co_u32 v0, vcc_lo, v4, v2
	v_add_co_ci_u32_e32 v1, vcc_lo, v5, v3, vcc_lo
	v_mov_b32_e32 v7, v15
	v_lshlrev_b64 v[2:3], 3, v[13:14]
	v_add_co_u32 v10, vcc_lo, v4, v10
	v_add_co_ci_u32_e32 v11, vcc_lo, v5, v11, vcc_lo
	v_lshlrev_b64 v[6:7], 3, v[6:7]
	v_add_co_u32 v2, vcc_lo, v4, v2
	v_add_co_ci_u32_e32 v3, vcc_lo, v5, v3, vcc_lo
	v_add_co_u32 v4, vcc_lo, v4, v6
	v_add_co_ci_u32_e32 v5, vcc_lo, v5, v7, vcc_lo
	global_store_dwordx2 v[8:9], v[28:29], off
	global_store_dwordx2 v[0:1], v[26:27], off
	;; [unrolled: 1-line block ×5, first 2 shown]
.LBB0_37:
	s_endpgm
	.section	.rodata,"a",@progbits
	.p2align	6, 0x0
	.amdhsa_kernel fft_rtc_back_len1176_factors_2_2_2_3_7_7_wgs_56_tpt_56_halfLds_sp_ip_CI_sbrr_dirReg
		.amdhsa_group_segment_fixed_size 0
		.amdhsa_private_segment_fixed_size 0
		.amdhsa_kernarg_size 88
		.amdhsa_user_sgpr_count 6
		.amdhsa_user_sgpr_private_segment_buffer 1
		.amdhsa_user_sgpr_dispatch_ptr 0
		.amdhsa_user_sgpr_queue_ptr 0
		.amdhsa_user_sgpr_kernarg_segment_ptr 1
		.amdhsa_user_sgpr_dispatch_id 0
		.amdhsa_user_sgpr_flat_scratch_init 0
		.amdhsa_user_sgpr_private_segment_size 0
		.amdhsa_wavefront_size32 1
		.amdhsa_uses_dynamic_stack 0
		.amdhsa_system_sgpr_private_segment_wavefront_offset 0
		.amdhsa_system_sgpr_workgroup_id_x 1
		.amdhsa_system_sgpr_workgroup_id_y 0
		.amdhsa_system_sgpr_workgroup_id_z 0
		.amdhsa_system_sgpr_workgroup_info 0
		.amdhsa_system_vgpr_workitem_id 0
		.amdhsa_next_free_vgpr 112
		.amdhsa_next_free_sgpr 23
		.amdhsa_reserve_vcc 1
		.amdhsa_reserve_flat_scratch 0
		.amdhsa_float_round_mode_32 0
		.amdhsa_float_round_mode_16_64 0
		.amdhsa_float_denorm_mode_32 3
		.amdhsa_float_denorm_mode_16_64 3
		.amdhsa_dx10_clamp 1
		.amdhsa_ieee_mode 1
		.amdhsa_fp16_overflow 0
		.amdhsa_workgroup_processor_mode 1
		.amdhsa_memory_ordered 1
		.amdhsa_forward_progress 0
		.amdhsa_shared_vgpr_count 0
		.amdhsa_exception_fp_ieee_invalid_op 0
		.amdhsa_exception_fp_denorm_src 0
		.amdhsa_exception_fp_ieee_div_zero 0
		.amdhsa_exception_fp_ieee_overflow 0
		.amdhsa_exception_fp_ieee_underflow 0
		.amdhsa_exception_fp_ieee_inexact 0
		.amdhsa_exception_int_div_zero 0
	.end_amdhsa_kernel
	.text
.Lfunc_end0:
	.size	fft_rtc_back_len1176_factors_2_2_2_3_7_7_wgs_56_tpt_56_halfLds_sp_ip_CI_sbrr_dirReg, .Lfunc_end0-fft_rtc_back_len1176_factors_2_2_2_3_7_7_wgs_56_tpt_56_halfLds_sp_ip_CI_sbrr_dirReg
                                        ; -- End function
	.section	.AMDGPU.csdata,"",@progbits
; Kernel info:
; codeLenInByte = 13768
; NumSgprs: 25
; NumVgprs: 112
; ScratchSize: 0
; MemoryBound: 0
; FloatMode: 240
; IeeeMode: 1
; LDSByteSize: 0 bytes/workgroup (compile time only)
; SGPRBlocks: 3
; VGPRBlocks: 13
; NumSGPRsForWavesPerEU: 25
; NumVGPRsForWavesPerEU: 112
; Occupancy: 9
; WaveLimiterHint : 1
; COMPUTE_PGM_RSRC2:SCRATCH_EN: 0
; COMPUTE_PGM_RSRC2:USER_SGPR: 6
; COMPUTE_PGM_RSRC2:TRAP_HANDLER: 0
; COMPUTE_PGM_RSRC2:TGID_X_EN: 1
; COMPUTE_PGM_RSRC2:TGID_Y_EN: 0
; COMPUTE_PGM_RSRC2:TGID_Z_EN: 0
; COMPUTE_PGM_RSRC2:TIDIG_COMP_CNT: 0
	.text
	.p2alignl 6, 3214868480
	.fill 48, 4, 3214868480
	.type	__hip_cuid_7ed2f6ea9ce6a921,@object ; @__hip_cuid_7ed2f6ea9ce6a921
	.section	.bss,"aw",@nobits
	.globl	__hip_cuid_7ed2f6ea9ce6a921
__hip_cuid_7ed2f6ea9ce6a921:
	.byte	0                               ; 0x0
	.size	__hip_cuid_7ed2f6ea9ce6a921, 1

	.ident	"AMD clang version 19.0.0git (https://github.com/RadeonOpenCompute/llvm-project roc-6.4.0 25133 c7fe45cf4b819c5991fe208aaa96edf142730f1d)"
	.section	".note.GNU-stack","",@progbits
	.addrsig
	.addrsig_sym __hip_cuid_7ed2f6ea9ce6a921
	.amdgpu_metadata
---
amdhsa.kernels:
  - .args:
      - .actual_access:  read_only
        .address_space:  global
        .offset:         0
        .size:           8
        .value_kind:     global_buffer
      - .offset:         8
        .size:           8
        .value_kind:     by_value
      - .actual_access:  read_only
        .address_space:  global
        .offset:         16
        .size:           8
        .value_kind:     global_buffer
      - .actual_access:  read_only
        .address_space:  global
        .offset:         24
        .size:           8
        .value_kind:     global_buffer
      - .offset:         32
        .size:           8
        .value_kind:     by_value
      - .actual_access:  read_only
        .address_space:  global
        .offset:         40
        .size:           8
        .value_kind:     global_buffer
      - .actual_access:  read_only
        .address_space:  global
        .offset:         48
        .size:           8
        .value_kind:     global_buffer
      - .offset:         56
        .size:           4
        .value_kind:     by_value
      - .actual_access:  read_only
        .address_space:  global
        .offset:         64
        .size:           8
        .value_kind:     global_buffer
      - .actual_access:  read_only
        .address_space:  global
        .offset:         72
        .size:           8
        .value_kind:     global_buffer
      - .address_space:  global
        .offset:         80
        .size:           8
        .value_kind:     global_buffer
    .group_segment_fixed_size: 0
    .kernarg_segment_align: 8
    .kernarg_segment_size: 88
    .language:       OpenCL C
    .language_version:
      - 2
      - 0
    .max_flat_workgroup_size: 56
    .name:           fft_rtc_back_len1176_factors_2_2_2_3_7_7_wgs_56_tpt_56_halfLds_sp_ip_CI_sbrr_dirReg
    .private_segment_fixed_size: 0
    .sgpr_count:     25
    .sgpr_spill_count: 0
    .symbol:         fft_rtc_back_len1176_factors_2_2_2_3_7_7_wgs_56_tpt_56_halfLds_sp_ip_CI_sbrr_dirReg.kd
    .uniform_work_group_size: 1
    .uses_dynamic_stack: false
    .vgpr_count:     112
    .vgpr_spill_count: 0
    .wavefront_size: 32
    .workgroup_processor_mode: 1
amdhsa.target:   amdgcn-amd-amdhsa--gfx1030
amdhsa.version:
  - 1
  - 2
...

	.end_amdgpu_metadata
